;; amdgpu-corpus repo=ROCm/rocFFT kind=compiled arch=gfx1201 opt=O3
	.text
	.amdgcn_target "amdgcn-amd-amdhsa--gfx1201"
	.amdhsa_code_object_version 6
	.protected	fft_rtc_fwd_len1875_factors_5_5_5_5_3_wgs_250_tpt_125_halfLds_dp_op_CI_CI_unitstride_sbrr_dirReg ; -- Begin function fft_rtc_fwd_len1875_factors_5_5_5_5_3_wgs_250_tpt_125_halfLds_dp_op_CI_CI_unitstride_sbrr_dirReg
	.globl	fft_rtc_fwd_len1875_factors_5_5_5_5_3_wgs_250_tpt_125_halfLds_dp_op_CI_CI_unitstride_sbrr_dirReg
	.p2align	8
	.type	fft_rtc_fwd_len1875_factors_5_5_5_5_3_wgs_250_tpt_125_halfLds_dp_op_CI_CI_unitstride_sbrr_dirReg,@function
fft_rtc_fwd_len1875_factors_5_5_5_5_3_wgs_250_tpt_125_halfLds_dp_op_CI_CI_unitstride_sbrr_dirReg: ; @fft_rtc_fwd_len1875_factors_5_5_5_5_3_wgs_250_tpt_125_halfLds_dp_op_CI_CI_unitstride_sbrr_dirReg
; %bb.0:
	s_clause 0x2
	s_load_b128 s[8:11], s[0:1], 0x0
	s_load_b128 s[4:7], s[0:1], 0x58
	;; [unrolled: 1-line block ×3, first 2 shown]
	v_mul_u32_u24_e32 v1, 0x20d, v0
	v_mov_b32_e32 v4, 0
	v_mov_b32_e32 v5, 0
	s_delay_alu instid0(VALU_DEP_3) | instskip(SKIP_1) | instid1(VALU_DEP_2)
	v_lshrrev_b32_e32 v65, 16, v1
	v_mov_b32_e32 v1, 0
	v_lshl_add_u32 v6, ttmp9, 1, v65
	s_delay_alu instid0(VALU_DEP_2) | instskip(SKIP_2) | instid1(VALU_DEP_1)
	v_mov_b32_e32 v7, v1
	s_wait_kmcnt 0x0
	v_cmp_lt_u64_e64 s2, s[10:11], 2
	s_and_b32 vcc_lo, exec_lo, s2
	s_cbranch_vccnz .LBB0_8
; %bb.1:
	s_load_b64 s[2:3], s[0:1], 0x10
	v_mov_b32_e32 v4, 0
	v_mov_b32_e32 v5, 0
	s_add_nc_u64 s[16:17], s[14:15], 8
	s_add_nc_u64 s[18:19], s[12:13], 8
	s_mov_b64 s[20:21], 1
	s_delay_alu instid0(VALU_DEP_1)
	v_dual_mov_b32 v61, v5 :: v_dual_mov_b32 v60, v4
	s_wait_kmcnt 0x0
	s_add_nc_u64 s[22:23], s[2:3], 8
	s_mov_b32 s3, 0
.LBB0_2:                                ; =>This Inner Loop Header: Depth=1
	s_load_b64 s[24:25], s[22:23], 0x0
                                        ; implicit-def: $vgpr62_vgpr63
	s_mov_b32 s2, exec_lo
	s_wait_kmcnt 0x0
	v_or_b32_e32 v2, s25, v7
	s_delay_alu instid0(VALU_DEP_1)
	v_cmpx_ne_u64_e32 0, v[1:2]
	s_wait_alu 0xfffe
	s_xor_b32 s26, exec_lo, s2
	s_cbranch_execz .LBB0_4
; %bb.3:                                ;   in Loop: Header=BB0_2 Depth=1
	s_cvt_f32_u32 s2, s24
	s_cvt_f32_u32 s27, s25
	s_sub_nc_u64 s[30:31], 0, s[24:25]
	s_wait_alu 0xfffe
	s_delay_alu instid0(SALU_CYCLE_1) | instskip(SKIP_1) | instid1(SALU_CYCLE_2)
	s_fmamk_f32 s2, s27, 0x4f800000, s2
	s_wait_alu 0xfffe
	v_s_rcp_f32 s2, s2
	s_delay_alu instid0(TRANS32_DEP_1) | instskip(SKIP_1) | instid1(SALU_CYCLE_2)
	s_mul_f32 s2, s2, 0x5f7ffffc
	s_wait_alu 0xfffe
	s_mul_f32 s27, s2, 0x2f800000
	s_wait_alu 0xfffe
	s_delay_alu instid0(SALU_CYCLE_2) | instskip(SKIP_1) | instid1(SALU_CYCLE_2)
	s_trunc_f32 s27, s27
	s_wait_alu 0xfffe
	s_fmamk_f32 s2, s27, 0xcf800000, s2
	s_cvt_u32_f32 s29, s27
	s_wait_alu 0xfffe
	s_delay_alu instid0(SALU_CYCLE_1) | instskip(SKIP_1) | instid1(SALU_CYCLE_2)
	s_cvt_u32_f32 s28, s2
	s_wait_alu 0xfffe
	s_mul_u64 s[34:35], s[30:31], s[28:29]
	s_wait_alu 0xfffe
	s_mul_hi_u32 s37, s28, s35
	s_mul_i32 s36, s28, s35
	s_mul_hi_u32 s2, s28, s34
	s_mul_i32 s33, s29, s34
	s_wait_alu 0xfffe
	s_add_nc_u64 s[36:37], s[2:3], s[36:37]
	s_mul_hi_u32 s27, s29, s34
	s_mul_hi_u32 s38, s29, s35
	s_add_co_u32 s2, s36, s33
	s_wait_alu 0xfffe
	s_add_co_ci_u32 s2, s37, s27
	s_mul_i32 s34, s29, s35
	s_add_co_ci_u32 s35, s38, 0
	s_wait_alu 0xfffe
	s_add_nc_u64 s[34:35], s[2:3], s[34:35]
	s_wait_alu 0xfffe
	v_add_co_u32 v2, s2, s28, s34
	s_delay_alu instid0(VALU_DEP_1) | instskip(SKIP_1) | instid1(VALU_DEP_1)
	s_cmp_lg_u32 s2, 0
	s_add_co_ci_u32 s29, s29, s35
	v_readfirstlane_b32 s28, v2
	s_wait_alu 0xfffe
	s_delay_alu instid0(VALU_DEP_1)
	s_mul_u64 s[30:31], s[30:31], s[28:29]
	s_wait_alu 0xfffe
	s_mul_hi_u32 s35, s28, s31
	s_mul_i32 s34, s28, s31
	s_mul_hi_u32 s2, s28, s30
	s_mul_i32 s33, s29, s30
	s_wait_alu 0xfffe
	s_add_nc_u64 s[34:35], s[2:3], s[34:35]
	s_mul_hi_u32 s27, s29, s30
	s_mul_hi_u32 s28, s29, s31
	s_wait_alu 0xfffe
	s_add_co_u32 s2, s34, s33
	s_add_co_ci_u32 s2, s35, s27
	s_mul_i32 s30, s29, s31
	s_add_co_ci_u32 s31, s28, 0
	s_wait_alu 0xfffe
	s_add_nc_u64 s[30:31], s[2:3], s[30:31]
	s_wait_alu 0xfffe
	v_add_co_u32 v8, s2, v2, s30
	s_delay_alu instid0(VALU_DEP_1) | instskip(SKIP_1) | instid1(VALU_DEP_1)
	s_cmp_lg_u32 s2, 0
	s_add_co_ci_u32 s2, s29, s31
	v_mul_hi_u32 v12, v6, v8
	s_wait_alu 0xfffe
	v_mad_co_u64_u32 v[2:3], null, v6, s2, 0
	v_mad_co_u64_u32 v[8:9], null, v7, v8, 0
	;; [unrolled: 1-line block ×3, first 2 shown]
	s_delay_alu instid0(VALU_DEP_3) | instskip(SKIP_1) | instid1(VALU_DEP_4)
	v_add_co_u32 v2, vcc_lo, v12, v2
	s_wait_alu 0xfffd
	v_add_co_ci_u32_e32 v3, vcc_lo, 0, v3, vcc_lo
	s_delay_alu instid0(VALU_DEP_2) | instskip(SKIP_1) | instid1(VALU_DEP_2)
	v_add_co_u32 v2, vcc_lo, v2, v8
	s_wait_alu 0xfffd
	v_add_co_ci_u32_e32 v2, vcc_lo, v3, v9, vcc_lo
	s_wait_alu 0xfffd
	v_add_co_ci_u32_e32 v3, vcc_lo, 0, v11, vcc_lo
	s_delay_alu instid0(VALU_DEP_2) | instskip(SKIP_1) | instid1(VALU_DEP_2)
	v_add_co_u32 v8, vcc_lo, v2, v10
	s_wait_alu 0xfffd
	v_add_co_ci_u32_e32 v9, vcc_lo, 0, v3, vcc_lo
	s_delay_alu instid0(VALU_DEP_2) | instskip(SKIP_1) | instid1(VALU_DEP_3)
	v_mul_lo_u32 v10, s25, v8
	v_mad_co_u64_u32 v[2:3], null, s24, v8, 0
	v_mul_lo_u32 v11, s24, v9
	s_delay_alu instid0(VALU_DEP_2) | instskip(NEXT) | instid1(VALU_DEP_2)
	v_sub_co_u32 v2, vcc_lo, v6, v2
	v_add3_u32 v3, v3, v11, v10
	s_delay_alu instid0(VALU_DEP_1) | instskip(SKIP_1) | instid1(VALU_DEP_1)
	v_sub_nc_u32_e32 v10, v7, v3
	s_wait_alu 0xfffd
	v_subrev_co_ci_u32_e64 v10, s2, s25, v10, vcc_lo
	v_add_co_u32 v11, s2, v8, 2
	s_wait_alu 0xf1ff
	v_add_co_ci_u32_e64 v12, s2, 0, v9, s2
	v_sub_co_u32 v13, s2, v2, s24
	v_sub_co_ci_u32_e32 v3, vcc_lo, v7, v3, vcc_lo
	s_wait_alu 0xf1ff
	v_subrev_co_ci_u32_e64 v10, s2, 0, v10, s2
	s_delay_alu instid0(VALU_DEP_3) | instskip(NEXT) | instid1(VALU_DEP_3)
	v_cmp_le_u32_e32 vcc_lo, s24, v13
	v_cmp_eq_u32_e64 s2, s25, v3
	s_wait_alu 0xfffd
	v_cndmask_b32_e64 v13, 0, -1, vcc_lo
	v_cmp_le_u32_e32 vcc_lo, s25, v10
	s_wait_alu 0xfffd
	v_cndmask_b32_e64 v14, 0, -1, vcc_lo
	v_cmp_le_u32_e32 vcc_lo, s24, v2
	;; [unrolled: 3-line block ×3, first 2 shown]
	s_wait_alu 0xfffd
	v_cndmask_b32_e64 v15, 0, -1, vcc_lo
	v_cmp_eq_u32_e32 vcc_lo, s25, v10
	s_wait_alu 0xf1ff
	s_delay_alu instid0(VALU_DEP_2)
	v_cndmask_b32_e64 v2, v15, v2, s2
	s_wait_alu 0xfffd
	v_cndmask_b32_e32 v10, v14, v13, vcc_lo
	v_add_co_u32 v13, vcc_lo, v8, 1
	s_wait_alu 0xfffd
	v_add_co_ci_u32_e32 v14, vcc_lo, 0, v9, vcc_lo
	s_delay_alu instid0(VALU_DEP_3) | instskip(SKIP_1) | instid1(VALU_DEP_2)
	v_cmp_ne_u32_e32 vcc_lo, 0, v10
	s_wait_alu 0xfffd
	v_dual_cndmask_b32 v3, v14, v12 :: v_dual_cndmask_b32 v10, v13, v11
	v_cmp_ne_u32_e32 vcc_lo, 0, v2
	s_wait_alu 0xfffd
	s_delay_alu instid0(VALU_DEP_2)
	v_dual_cndmask_b32 v63, v9, v3 :: v_dual_cndmask_b32 v62, v8, v10
.LBB0_4:                                ;   in Loop: Header=BB0_2 Depth=1
	s_wait_alu 0xfffe
	s_and_not1_saveexec_b32 s2, s26
	s_cbranch_execz .LBB0_6
; %bb.5:                                ;   in Loop: Header=BB0_2 Depth=1
	v_cvt_f32_u32_e32 v2, s24
	s_sub_co_i32 s26, 0, s24
	v_mov_b32_e32 v63, v1
	s_delay_alu instid0(VALU_DEP_2) | instskip(NEXT) | instid1(TRANS32_DEP_1)
	v_rcp_iflag_f32_e32 v2, v2
	v_mul_f32_e32 v2, 0x4f7ffffe, v2
	s_delay_alu instid0(VALU_DEP_1) | instskip(SKIP_1) | instid1(VALU_DEP_1)
	v_cvt_u32_f32_e32 v2, v2
	s_wait_alu 0xfffe
	v_mul_lo_u32 v3, s26, v2
	s_delay_alu instid0(VALU_DEP_1) | instskip(NEXT) | instid1(VALU_DEP_1)
	v_mul_hi_u32 v3, v2, v3
	v_add_nc_u32_e32 v2, v2, v3
	s_delay_alu instid0(VALU_DEP_1) | instskip(NEXT) | instid1(VALU_DEP_1)
	v_mul_hi_u32 v2, v6, v2
	v_mul_lo_u32 v3, v2, s24
	v_add_nc_u32_e32 v8, 1, v2
	s_delay_alu instid0(VALU_DEP_2) | instskip(NEXT) | instid1(VALU_DEP_1)
	v_sub_nc_u32_e32 v3, v6, v3
	v_subrev_nc_u32_e32 v9, s24, v3
	v_cmp_le_u32_e32 vcc_lo, s24, v3
	s_wait_alu 0xfffd
	s_delay_alu instid0(VALU_DEP_2) | instskip(NEXT) | instid1(VALU_DEP_1)
	v_dual_cndmask_b32 v3, v3, v9 :: v_dual_cndmask_b32 v2, v2, v8
	v_cmp_le_u32_e32 vcc_lo, s24, v3
	s_delay_alu instid0(VALU_DEP_2) | instskip(SKIP_1) | instid1(VALU_DEP_1)
	v_add_nc_u32_e32 v8, 1, v2
	s_wait_alu 0xfffd
	v_cndmask_b32_e32 v62, v2, v8, vcc_lo
.LBB0_6:                                ;   in Loop: Header=BB0_2 Depth=1
	s_wait_alu 0xfffe
	s_or_b32 exec_lo, exec_lo, s2
	v_mul_lo_u32 v8, v63, s24
	s_delay_alu instid0(VALU_DEP_2)
	v_mul_lo_u32 v9, v62, s25
	s_load_b64 s[26:27], s[18:19], 0x0
	v_mad_co_u64_u32 v[2:3], null, v62, s24, 0
	s_load_b64 s[24:25], s[16:17], 0x0
	s_add_nc_u64 s[20:21], s[20:21], 1
	s_add_nc_u64 s[16:17], s[16:17], 8
	s_wait_alu 0xfffe
	v_cmp_ge_u64_e64 s2, s[20:21], s[10:11]
	s_add_nc_u64 s[18:19], s[18:19], 8
	s_add_nc_u64 s[22:23], s[22:23], 8
	v_add3_u32 v3, v3, v9, v8
	v_sub_co_u32 v2, vcc_lo, v6, v2
	s_wait_alu 0xfffd
	s_delay_alu instid0(VALU_DEP_2) | instskip(SKIP_2) | instid1(VALU_DEP_1)
	v_sub_co_ci_u32_e32 v3, vcc_lo, v7, v3, vcc_lo
	s_and_b32 vcc_lo, exec_lo, s2
	s_wait_kmcnt 0x0
	v_mul_lo_u32 v6, s26, v3
	v_mul_lo_u32 v7, s27, v2
	v_mad_co_u64_u32 v[4:5], null, s26, v2, v[4:5]
	v_mul_lo_u32 v3, s24, v3
	v_mul_lo_u32 v8, s25, v2
	v_mad_co_u64_u32 v[60:61], null, s24, v2, v[60:61]
	s_delay_alu instid0(VALU_DEP_4) | instskip(NEXT) | instid1(VALU_DEP_2)
	v_add3_u32 v5, v7, v5, v6
	v_add3_u32 v61, v8, v61, v3
	s_wait_alu 0xfffe
	s_cbranch_vccnz .LBB0_9
; %bb.7:                                ;   in Loop: Header=BB0_2 Depth=1
	v_dual_mov_b32 v6, v62 :: v_dual_mov_b32 v7, v63
	s_branch .LBB0_2
.LBB0_8:
	v_dual_mov_b32 v61, v5 :: v_dual_mov_b32 v60, v4
	v_dual_mov_b32 v63, v7 :: v_dual_mov_b32 v62, v6
.LBB0_9:
	s_load_b64 s[0:1], s[0:1], 0x28
	v_mul_hi_u32 v1, 0x20c49bb, v0
	s_lshl_b64 s[10:11], s[10:11], 3
                                        ; implicit-def: $vgpr64
	s_wait_kmcnt 0x0
	v_cmp_gt_u64_e32 vcc_lo, s[0:1], v[62:63]
	v_cmp_le_u64_e64 s0, s[0:1], v[62:63]
	s_delay_alu instid0(VALU_DEP_1)
	s_and_saveexec_b32 s1, s0
	s_wait_alu 0xfffe
	s_xor_b32 s0, exec_lo, s1
; %bb.10:
	v_mul_u32_u24_e32 v1, 0x7d, v1
                                        ; implicit-def: $vgpr4_vgpr5
	s_delay_alu instid0(VALU_DEP_1)
	v_sub_nc_u32_e32 v64, v0, v1
                                        ; implicit-def: $vgpr1
                                        ; implicit-def: $vgpr0
; %bb.11:
	s_wait_alu 0xfffe
	s_or_saveexec_b32 s1, s0
	s_add_nc_u64 s[2:3], s[14:15], s[10:11]
                                        ; implicit-def: $vgpr10_vgpr11
                                        ; implicit-def: $vgpr26_vgpr27
                                        ; implicit-def: $vgpr46_vgpr47
                                        ; implicit-def: $vgpr50_vgpr51
                                        ; implicit-def: $vgpr42_vgpr43
                                        ; implicit-def: $vgpr6_vgpr7
                                        ; implicit-def: $vgpr22_vgpr23
                                        ; implicit-def: $vgpr34_vgpr35
                                        ; implicit-def: $vgpr54_vgpr55
                                        ; implicit-def: $vgpr30_vgpr31
                                        ; implicit-def: $vgpr2_vgpr3
                                        ; implicit-def: $vgpr18_vgpr19
                                        ; implicit-def: $vgpr38_vgpr39
                                        ; implicit-def: $vgpr58_vgpr59
                                        ; implicit-def: $vgpr14_vgpr15
	s_wait_alu 0xfffe
	s_xor_b32 exec_lo, exec_lo, s1
	s_cbranch_execz .LBB0_13
; %bb.12:
	s_add_nc_u64 s[10:11], s[12:13], s[10:11]
	s_load_b64 s[10:11], s[10:11], 0x0
	s_wait_kmcnt 0x0
	v_mul_lo_u32 v6, s11, v62
	v_mul_lo_u32 v7, s10, v63
	v_mad_co_u64_u32 v[2:3], null, s10, v62, 0
	s_delay_alu instid0(VALU_DEP_1) | instskip(SKIP_1) | instid1(VALU_DEP_2)
	v_add3_u32 v3, v3, v7, v6
	v_mul_u32_u24_e32 v6, 0x7d, v1
	v_lshlrev_b64_e32 v[1:2], 4, v[2:3]
	v_lshlrev_b64_e32 v[3:4], 4, v[4:5]
	s_delay_alu instid0(VALU_DEP_3) | instskip(NEXT) | instid1(VALU_DEP_3)
	v_sub_nc_u32_e32 v64, v0, v6
	v_add_co_u32 v0, s0, s4, v1
	s_wait_alu 0xf1ff
	s_delay_alu instid0(VALU_DEP_4) | instskip(NEXT) | instid1(VALU_DEP_3)
	v_add_co_ci_u32_e64 v1, s0, s5, v2, s0
	v_lshlrev_b32_e32 v2, 4, v64
	s_delay_alu instid0(VALU_DEP_3) | instskip(SKIP_1) | instid1(VALU_DEP_3)
	v_add_co_u32 v0, s0, v0, v3
	s_wait_alu 0xf1ff
	v_add_co_ci_u32_e64 v1, s0, v1, v4, s0
	s_delay_alu instid0(VALU_DEP_2) | instskip(SKIP_1) | instid1(VALU_DEP_2)
	v_add_co_u32 v8, s0, v0, v2
	s_wait_alu 0xf1ff
	v_add_co_ci_u32_e64 v9, s0, 0, v1, s0
	s_clause 0xe
	global_load_b128 v[12:15], v[8:9], off
	global_load_b128 v[28:31], v[8:9], off offset:2000
	global_load_b128 v[36:39], v[8:9], off offset:12000
	;; [unrolled: 1-line block ×14, first 2 shown]
.LBB0_13:
	s_or_b32 exec_lo, exec_lo, s1
	s_wait_loadcnt 0x8
	v_add_f64_e32 v[66:67], v[0:1], v[56:57]
	s_wait_loadcnt 0x6
	v_add_f64_e32 v[68:69], v[4:5], v[52:53]
	;; [unrolled: 2-line block ×3, first 2 shown]
	v_add_f64_e32 v[72:73], v[56:57], v[12:13]
	v_add_f64_e32 v[76:77], v[16:17], v[36:37]
	;; [unrolled: 1-line block ×9, first 2 shown]
	v_add_f64_e64 v[104:105], v[38:39], -v[18:19]
	v_add_f64_e32 v[88:89], v[52:53], v[28:29]
	v_add_f64_e32 v[90:91], v[54:55], v[30:31]
	;; [unrolled: 1-line block ×3, first 2 shown]
	v_add_f64_e64 v[120:121], v[34:35], -v[22:23]
	v_add_f64_e32 v[96:97], v[10:11], v[50:51]
	v_add_f64_e64 v[124:125], v[46:47], -v[26:27]
	v_add_f64_e64 v[98:99], v[56:57], -v[36:37]
	;; [unrolled: 1-line block ×6, first 2 shown]
	v_add_f64_e32 v[128:129], v[48:49], v[40:41]
	v_add_f64_e64 v[136:137], v[4:5], -v[20:21]
	v_add_f64_e64 v[114:115], v[54:55], -v[6:7]
	v_add_f64_e32 v[130:131], v[50:51], v[42:43]
	v_add_f64_e64 v[56:57], v[56:57], -v[0:1]
	v_add_f64_e64 v[118:119], v[32:33], -v[52:53]
	;; [unrolled: 1-line block ×3, first 2 shown]
	s_mov_b32 s10, 0x134454ff
	s_mov_b32 s11, 0x3fee6f0e
	;; [unrolled: 1-line block ×3, first 2 shown]
	s_wait_alu 0xfffe
	s_mov_b32 s4, s10
	v_add_f64_e64 v[108:109], v[58:59], -v[38:39]
	v_add_f64_e64 v[58:59], v[38:39], -v[58:59]
	;; [unrolled: 1-line block ×3, first 2 shown]
	v_fma_f64 v[66:67], v[66:67], -0.5, v[12:13]
	v_fma_f64 v[68:69], v[68:69], -0.5, v[28:29]
	;; [unrolled: 1-line block ×3, first 2 shown]
	v_add_f64_e32 v[36:37], v[36:37], v[72:73]
	v_fma_f64 v[12:13], v[76:77], -0.5, v[12:13]
	v_add_f64_e64 v[72:73], v[50:51], -v[10:11]
	v_fma_f64 v[40:41], v[92:93], -0.5, v[40:41]
	v_fma_f64 v[28:29], v[82:83], -0.5, v[28:29]
	v_fma_f64 v[76:77], v[78:79], -0.5, v[14:15]
	v_fma_f64 v[14:15], v[80:81], -0.5, v[14:15]
	v_add_f64_e64 v[78:79], v[44:45], -v[48:49]
	v_add_f64_e64 v[80:81], v[24:25], -v[8:9]
	;; [unrolled: 1-line block ×3, first 2 shown]
	v_add_f64_e32 v[38:39], v[38:39], v[74:75]
	v_add_f64_e64 v[74:75], v[8:9], -v[24:25]
	v_fma_f64 v[82:83], v[84:85], -0.5, v[30:31]
	v_add_f64_e64 v[126:127], v[32:33], -v[20:21]
	v_fma_f64 v[30:31], v[86:87], -0.5, v[30:31]
	v_add_f64_e64 v[100:101], v[0:1], -v[16:17]
	v_add_f64_e64 v[122:123], v[54:55], -v[34:35]
	v_add_f64_e64 v[54:55], v[34:35], -v[54:55]
	v_add_f64_e64 v[48:49], v[48:49], -v[8:9]
	v_add_f64_e32 v[32:33], v[32:33], v[88:89]
	v_add_f64_e32 v[34:35], v[34:35], v[90:91]
	v_fma_f64 v[90:91], v[94:95], -0.5, v[42:43]
	v_add_f64_e64 v[110:111], v[16:17], -v[0:1]
	v_fma_f64 v[42:43], v[96:97], -0.5, v[42:43]
	v_add_f64_e64 v[94:95], v[44:45], -v[24:25]
	v_add_f64_e32 v[116:117], v[136:137], v[116:117]
	v_add_f64_e32 v[44:45], v[44:45], v[128:129]
	v_add_f64_e64 v[84:85], v[50:51], -v[46:47]
	v_add_f64_e64 v[50:51], v[46:47], -v[50:51]
	v_add_f64_e32 v[46:47], v[46:47], v[130:131]
	v_add_f64_e64 v[132:133], v[2:3], -v[18:19]
	v_add_f64_e64 v[134:135], v[18:19], -v[2:3]
	v_add_f64_e32 v[118:119], v[138:139], v[118:119]
	s_mov_b32 s12, 0x4755a5e
	s_mov_b32 s13, 0x3fe2cf23
	s_wait_alu 0xfffe
	v_fma_f64 v[86:87], v[104:105], s[4:5], v[66:67]
	v_fma_f64 v[66:67], v[104:105], s[10:11], v[66:67]
	;; [unrolled: 1-line block ×12, first 2 shown]
	v_add_f64_e32 v[78:79], v[80:81], v[78:79]
	v_fma_f64 v[80:81], v[56:57], s[4:5], v[76:77]
	v_fma_f64 v[76:77], v[56:57], s[10:11], v[76:77]
	;; [unrolled: 1-line block ×4, first 2 shown]
	s_mov_b32 s15, 0xbfe2cf23
	s_mov_b32 s14, s12
	v_add_f64_e64 v[140:141], v[6:7], -v[22:23]
	v_add_f64_e32 v[74:75], v[74:75], v[142:143]
	v_fma_f64 v[142:143], v[52:53], s[4:5], v[82:83]
	v_add_f64_e64 v[96:97], v[22:23], -v[6:7]
	v_fma_f64 v[82:83], v[52:53], s[10:11], v[82:83]
	v_add_f64_e32 v[98:99], v[100:101], v[98:99]
	v_add_f64_e64 v[100:101], v[10:11], -v[26:27]
	v_add_f64_e32 v[106:107], v[110:111], v[106:107]
	v_add_f64_e64 v[110:111], v[26:27], -v[10:11]
	v_add_f64_e32 v[16:17], v[16:17], v[36:37]
	v_add_f64_e32 v[20:21], v[20:21], v[32:33]
	v_add_f64_e32 v[24:25], v[24:25], v[44:45]
	v_add_f64_e32 v[18:19], v[18:19], v[38:39]
	v_add_f64_e32 v[22:23], v[22:23], v[34:35]
	v_add_f64_e32 v[34:35], v[26:27], v[46:47]
	v_add_f64_e32 v[58:59], v[134:135], v[58:59]
	s_mov_b32 s16, 0x372fe950
	s_mov_b32 s17, 0x3fd3c6ef
	v_and_b32_e32 v144, 1, v65
	v_fma_f64 v[86:87], v[102:103], s[12:13], v[86:87]
	v_fma_f64 v[66:67], v[102:103], s[14:15], v[66:67]
	v_fma_f64 v[102:103], v[126:127], s[10:11], v[30:31]
	v_fma_f64 v[30:31], v[126:127], s[4:5], v[30:31]
	v_fma_f64 v[88:89], v[114:115], s[12:13], v[88:89]
	v_fma_f64 v[68:69], v[114:115], s[14:15], v[68:69]
	v_fma_f64 v[114:115], v[48:49], s[4:5], v[90:91]
	v_fma_f64 v[90:91], v[48:49], s[10:11], v[90:91]
	v_fma_f64 v[92:93], v[72:73], s[12:13], v[92:93]
	v_fma_f64 v[70:71], v[72:73], s[14:15], v[70:71]
	v_fma_f64 v[72:73], v[94:95], s[10:11], v[42:43]
	v_fma_f64 v[42:43], v[94:95], s[4:5], v[42:43]
	v_fma_f64 v[32:33], v[104:105], s[12:13], v[128:129]
	v_fma_f64 v[44:45], v[124:125], s[12:13], v[136:137]
	v_fma_f64 v[36:37], v[120:121], s[12:13], v[130:131]
	v_fma_f64 v[12:13], v[104:105], s[14:15], v[12:13]
	v_fma_f64 v[28:29], v[120:121], s[14:15], v[28:29]
	v_fma_f64 v[40:41], v[124:125], s[14:15], v[40:41]
	v_add_f64_e32 v[104:105], v[132:133], v[108:109]
	v_fma_f64 v[38:39], v[112:113], s[14:15], v[80:81]
	v_fma_f64 v[46:47], v[112:113], s[12:13], v[76:77]
	;; [unrolled: 1-line block ×4, first 2 shown]
	v_add_f64_e32 v[108:109], v[140:141], v[122:123]
	v_fma_f64 v[56:57], v[126:127], s[14:15], v[142:143]
	v_add_f64_e32 v[54:55], v[96:97], v[54:55]
	v_fma_f64 v[80:81], v[126:127], s[12:13], v[82:83]
	v_add_f64_e32 v[84:85], v[100:101], v[84:85]
	v_add_f64_e32 v[50:51], v[110:111], v[50:51]
	;; [unrolled: 1-line block ×5, first 2 shown]
	v_cmp_eq_u32_e64 s0, 1, v144
	v_add_f64_e32 v[18:19], v[2:3], v[18:19]
	s_load_b64 s[2:3], s[2:3], 0x0
	s_delay_alu instid0(VALU_DEP_2)
	v_cndmask_b32_e64 v27, 0, 0x3a98, s0
	v_fma_f64 v[86:87], v[106:107], s[16:17], v[86:87]
	v_fma_f64 v[65:66], v[106:107], s[16:17], v[66:67]
	;; [unrolled: 1-line block ×9, first 2 shown]
	v_add_nc_u32_e32 v26, 0, v27
	v_fma_f64 v[72:73], v[48:49], s[14:15], v[72:73]
	v_fma_f64 v[42:43], v[48:49], s[12:13], v[42:43]
	;; [unrolled: 1-line block ×10, first 2 shown]
	v_mad_u32_u24 v98, v64, 40, v26
	v_fma_f64 v[76:77], v[58:59], s[16:17], v[76:77]
	v_fma_f64 v[58:59], v[58:59], s[16:17], v[14:15]
	v_add_f64_e32 v[44:45], v[6:7], v[22:23]
	v_fma_f64 v[56:57], v[108:109], s[16:17], v[56:57]
	v_add_f64_e32 v[69:70], v[10:11], v[34:35]
	v_add_nc_u32_e32 v32, 0x7d, v64
	v_add_nc_u32_e32 v101, 0x2710, v98
	;; [unrolled: 1-line block ×4, first 2 shown]
	v_fma_f64 v[78:79], v[104:105], s[16:17], v[46:47]
	v_add_nc_u32_e32 v100, 0x1398, v98
	v_fma_f64 v[80:81], v[108:109], s[16:17], v[80:81]
	v_lshl_add_u32 v34, v64, 3, v26
	ds_store_2addr_b64 v98, v[0:1], v[16:17] offset1:1
	ds_store_2addr_b64 v98, v[86:87], v[65:66] offset0:2 offset1:3
	ds_store_2addr_b64 v99, v[4:5], v[20:21] offset1:1
	ds_store_2addr_b64 v100, v[88:89], v[67:68] offset1:1
	v_fma_f64 v[82:83], v[54:55], s[16:17], v[82:83]
	v_fma_f64 v[94:95], v[54:55], s[16:17], v[30:31]
	;; [unrolled: 1-line block ×6, first 2 shown]
	ds_store_2addr_b64 v101, v[8:9], v[24:25] offset1:1
	ds_store_2addr_b64 v102, v[92:93], v[36:37] offset1:1
	ds_store_b64 v98, v[12:13] offset:32
	ds_store_b64 v98, v[28:29] offset:5032
	;; [unrolled: 1-line block ×3, first 2 shown]
	v_and_b32_e32 v29, 0xff, v32
	v_add_nc_u32_e32 v41, 0xfa, v64
	v_lshlrev_b32_e32 v0, 5, v64
	global_wb scope:SCOPE_SE
	s_wait_dscnt 0x0
	s_wait_kmcnt 0x0
	s_barrier_signal -1
	v_mul_lo_u16 v20, 0xcd, v29
	v_and_b32_e32 v28, 0xffff, v41
	v_sub_nc_u32_e32 v33, v98, v0
	s_barrier_wait -1
	global_inv scope:SCOPE_SE
	v_lshrrev_b16 v31, 10, v20
	v_mul_u32_u24_e32 v20, 0xcccd, v28
	v_add_nc_u32_e32 v35, 0x800, v33
	v_add_nc_u32_e32 v37, 0x2000, v33
	v_add_nc_u32_e32 v38, 0x2800, v33
	v_mul_lo_u16 v21, v31, 5
	v_lshrrev_b32_e32 v42, 18, v20
	v_add_nc_u32_e32 v36, 0x1000, v33
	v_add_nc_u32_e32 v39, 0x1800, v33
	;; [unrolled: 1-line block ×3, first 2 shown]
	ds_load_b64 v[12:13], v34
	ds_load_2addr_b64 v[4:7], v35 offset0:119 offset1:244
	ds_load_2addr_b64 v[0:3], v36 offset0:113 offset1:238
	;; [unrolled: 1-line block ×7, first 2 shown]
	global_wb scope:SCOPE_SE
	s_wait_dscnt 0x0
	s_barrier_signal -1
	s_barrier_wait -1
	global_inv scope:SCOPE_SE
	ds_store_2addr_b64 v98, v[18:19], v[74:75] offset1:1
	ds_store_2addr_b64 v98, v[76:77], v[58:59] offset0:2 offset1:3
	v_sub_nc_u16 v18, v32, v21
	v_mul_lo_u16 v19, v42, 5
	ds_store_2addr_b64 v99, v[44:45], v[56:57] offset1:1
	ds_store_2addr_b64 v100, v[82:83], v[94:95] offset1:1
	;; [unrolled: 1-line block ×4, first 2 shown]
	ds_store_b64 v98, v[78:79] offset:32
	ds_store_b64 v98, v[80:81] offset:5032
	;; [unrolled: 1-line block ×3, first 2 shown]
	v_and_b32_e32 v43, 0xff, v18
	v_sub_nc_u16 v18, v41, v19
	global_wb scope:SCOPE_SE
	s_wait_dscnt 0x0
	s_barrier_signal -1
	s_barrier_wait -1
	v_lshlrev_b32_e32 v59, 6, v43
	v_and_b32_e32 v44, 0xffff, v18
	global_inv scope:SCOPE_SE
	v_and_b32_e32 v30, 0xff, v64
	v_and_b32_e32 v31, 0xffff, v31
	v_lshlrev_b32_e32 v43, 3, v43
	v_lshlrev_b32_e32 v85, 6, v44
	s_clause 0x3
	global_load_b128 v[18:21], v59, s[8:9] offset:16
	global_load_b128 v[55:58], v85, s[8:9] offset:16
	global_load_b128 v[65:68], v59, s[8:9] offset:48
	global_load_b128 v[69:72], v85, s[8:9] offset:48
	v_mul_lo_u16 v45, 0xcd, v30
	s_clause 0x1
	global_load_b128 v[73:76], v59, s[8:9]
	global_load_b128 v[77:80], v59, s[8:9] offset:32
	v_mad_u32_u24 v31, 0xc8, v31, 0
	v_mad_u32_u24 v42, 0xc8, v42, 0
	v_lshlrev_b32_e32 v44, 3, v44
	v_lshrrev_b16 v46, 10, v45
	s_delay_alu instid0(VALU_DEP_4) | instskip(NEXT) | instid1(VALU_DEP_2)
	v_add3_u32 v31, v31, v43, v27
	v_mul_lo_u16 v45, v46, 5
	s_delay_alu instid0(VALU_DEP_1) | instskip(NEXT) | instid1(VALU_DEP_1)
	v_sub_nc_u16 v45, v64, v45
	v_and_b32_e32 v45, 0xff, v45
	s_delay_alu instid0(VALU_DEP_1)
	v_lshlrev_b32_e32 v59, 6, v45
	s_clause 0x5
	global_load_b128 v[81:84], v85, s[8:9] offset:32
	global_load_b128 v[85:88], v85, s[8:9]
	global_load_b128 v[89:92], v59, s[8:9]
	global_load_b128 v[93:96], v59, s[8:9] offset:32
	global_load_b128 v[97:100], v59, s[8:9] offset:16
	;; [unrolled: 1-line block ×3, first 2 shown]
	ds_load_2addr_b64 v[105:108], v39 offset0:107 offset1:232
	ds_load_2addr_b64 v[109:112], v40 offset0:89 offset1:214
	;; [unrolled: 1-line block ×6, first 2 shown]
	v_mul_u32_u24_e32 v59, 0x47af, v28
	v_lshlrev_b32_e32 v45, 3, v45
	s_delay_alu instid0(VALU_DEP_2) | instskip(NEXT) | instid1(VALU_DEP_1)
	v_lshrrev_b32_e32 v59, 16, v59
	v_sub_nc_u16 v145, v41, v59
	s_wait_loadcnt_dscnt 0xb05
	v_mul_f64_e32 v[129:130], v[105:106], v[20:21]
	s_wait_loadcnt 0xa
	v_mul_f64_e32 v[131:132], v[107:108], v[57:58]
	v_mul_f64_e32 v[57:58], v[16:17], v[57:58]
	;; [unrolled: 1-line block ×3, first 2 shown]
	s_wait_loadcnt_dscnt 0x904
	v_mul_f64_e32 v[133:134], v[109:110], v[67:68]
	v_mul_f64_e32 v[67:68], v[51:52], v[67:68]
	s_wait_loadcnt 0x8
	v_mul_f64_e32 v[135:136], v[111:112], v[71:72]
	v_mul_f64_e32 v[71:72], v[53:54], v[71:72]
	s_wait_loadcnt_dscnt 0x703
	v_mul_f64_e32 v[137:138], v[115:116], v[75:76]
	s_wait_loadcnt_dscnt 0x602
	v_mul_f64_e32 v[139:140], v[119:120], v[79:80]
	v_mul_f64_e32 v[75:76], v[6:7], v[75:76]
	v_mul_f64_e32 v[79:80], v[24:25], v[79:80]
	s_wait_loadcnt 0x3
	v_mul_f64_e32 v[141:142], v[113:114], v[91:92]
	s_wait_loadcnt 0x2
	v_mul_f64_e32 v[143:144], v[117:118], v[95:96]
	v_fma_f64 v[129:130], v[14:15], v[18:19], -v[129:130]
	v_fma_f64 v[131:132], v[16:17], v[55:56], -v[131:132]
	v_fma_f64 v[55:56], v[107:108], v[55:56], v[57:58]
	s_wait_dscnt 0x0
	v_mul_f64_e32 v[57:58], v[125:126], v[83:84]
	v_mul_f64_e32 v[107:108], v[121:122], v[87:88]
	v_fma_f64 v[105:106], v[105:106], v[18:19], v[20:21]
	v_fma_f64 v[20:21], v[51:52], v[65:66], -v[133:134]
	v_fma_f64 v[14:15], v[109:110], v[65:66], v[67:68]
	v_mul_f64_e32 v[51:52], v[47:48], v[83:84]
	v_mul_f64_e32 v[65:66], v[0:1], v[87:88]
	v_fma_f64 v[18:19], v[53:54], v[69:70], -v[135:136]
	s_wait_loadcnt 0x1
	v_mul_f64_e32 v[53:54], v[123:124], v[99:100]
	s_wait_loadcnt 0x0
	v_mul_f64_e32 v[67:68], v[127:128], v[103:104]
	v_fma_f64 v[16:17], v[111:112], v[69:70], v[71:72]
	v_mul_f64_e32 v[69:70], v[4:5], v[91:92]
	v_mul_f64_e32 v[71:72], v[22:23], v[95:96]
	;; [unrolled: 1-line block ×4, first 2 shown]
	v_fma_f64 v[91:92], v[24:25], v[77:78], -v[139:140]
	v_fma_f64 v[95:96], v[6:7], v[73:74], -v[137:138]
	v_fma_f64 v[73:74], v[115:116], v[73:74], v[75:76]
	v_fma_f64 v[75:76], v[4:5], v[89:90], -v[141:142]
	v_fma_f64 v[24:25], v[47:48], v[81:82], -v[57:58]
	v_fma_f64 v[57:58], v[0:1], v[85:86], -v[107:108]
	v_fma_f64 v[0:1], v[119:120], v[77:78], v[79:80]
	v_fma_f64 v[4:5], v[125:126], v[81:82], v[51:52]
	;; [unrolled: 1-line block ×3, first 2 shown]
	v_fma_f64 v[65:66], v[22:23], v[93:94], -v[143:144]
	v_fma_f64 v[53:54], v[2:3], v[97:98], -v[53:54]
	;; [unrolled: 1-line block ×3, first 2 shown]
	ds_load_2addr_b64 v[47:50], v33 offset0:125 offset1:250
	v_fma_f64 v[67:68], v[113:114], v[89:90], v[69:70]
	v_fma_f64 v[6:7], v[117:118], v[93:94], v[71:72]
	;; [unrolled: 1-line block ×4, first 2 shown]
	v_add_f64_e32 v[71:72], v[129:130], v[91:92]
	v_add_f64_e32 v[77:78], v[95:96], v[20:21]
	;; [unrolled: 1-line block ×3, first 2 shown]
	v_add_f64_e64 v[121:122], v[95:96], -v[129:130]
	v_add_f64_e64 v[123:124], v[20:21], -v[91:92]
	;; [unrolled: 1-line block ×6, first 2 shown]
	v_add_f64_e32 v[103:104], v[8:9], v[95:96]
	v_add_f64_e64 v[95:96], v[95:96], -v[20:21]
	s_wait_dscnt 0x0
	v_add_f64_e32 v[109:110], v[47:48], v[73:74]
	v_add_f64_e64 v[73:74], v[73:74], -v[14:15]
	v_add_f64_e32 v[79:80], v[131:132], v[24:25]
	v_add_f64_e32 v[81:82], v[57:58], v[18:19]
	;; [unrolled: 1-line block ×3, first 2 shown]
	v_add_f64_e64 v[137:138], v[14:15], -v[0:1]
	v_add_f64_e64 v[143:144], v[0:1], -v[14:15]
	v_add_f64_e32 v[87:88], v[55:56], v[4:5]
	v_add_f64_e32 v[89:90], v[51:52], v[16:17]
	;; [unrolled: 1-line block ×3, first 2 shown]
	v_add_f64_e64 v[93:94], v[75:76], -v[53:54]
	v_add_f64_e64 v[97:98], v[2:3], -v[65:66]
	;; [unrolled: 1-line block ×4, first 2 shown]
	v_add_f64_e32 v[135:136], v[53:54], v[65:66]
	v_add_f64_e64 v[113:114], v[67:68], -v[69:70]
	v_add_f64_e64 v[115:116], v[22:23], -v[6:7]
	v_add_f64_e64 v[117:118], v[69:70], -v[67:68]
	v_add_f64_e64 v[119:120], v[6:7], -v[22:23]
	v_add_f64_e32 v[141:142], v[75:76], v[2:3]
	v_fma_f64 v[71:72], v[71:72], -0.5, v[8:9]
	v_fma_f64 v[8:9], v[77:78], -0.5, v[8:9]
	v_add_f64_e32 v[111:112], v[49:50], v[51:52]
	v_add_f64_e32 v[121:122], v[121:122], v[123:124]
	;; [unrolled: 1-line block ×4, first 2 shown]
	v_add_f64_e64 v[127:128], v[67:68], -v[22:23]
	v_add_f64_e32 v[103:104], v[103:104], v[129:130]
	v_add_f64_e64 v[129:130], v[129:130], -v[91:92]
	v_fma_f64 v[77:78], v[79:80], -0.5, v[10:11]
	v_fma_f64 v[10:11], v[81:82], -0.5, v[10:11]
	v_add_f64_e64 v[79:80], v[57:58], -v[131:132]
	v_add_f64_e64 v[81:82], v[18:19], -v[24:25]
	v_fma_f64 v[83:84], v[83:84], -0.5, v[47:48]
	v_fma_f64 v[47:48], v[85:86], -0.5, v[47:48]
	;; [unrolled: 1-line block ×4, first 2 shown]
	v_add_f64_e64 v[87:88], v[131:132], -v[57:58]
	v_add_f64_e64 v[89:90], v[24:25], -v[18:19]
	v_add_f64_e32 v[93:94], v[93:94], v[97:98]
	v_add_f64_e32 v[97:98], v[12:13], v[75:76]
	;; [unrolled: 1-line block ×3, first 2 shown]
	ds_load_b64 v[101:102], v34
	v_add_f64_e32 v[113:114], v[113:114], v[115:116]
	v_add_f64_e64 v[115:116], v[51:52], -v[55:56]
	v_add_f64_e32 v[117:118], v[117:118], v[119:120]
	v_add_f64_e64 v[119:120], v[16:17], -v[4:5]
	v_fma_f64 v[135:136], v[135:136], -0.5, v[12:13]
	v_add_f64_e32 v[133:134], v[133:134], v[137:138]
	v_add_f64_e32 v[137:138], v[67:68], v[22:23]
	v_fma_f64 v[12:13], v[141:142], -0.5, v[12:13]
	v_add_f64_e64 v[141:142], v[69:70], -v[6:7]
	v_add_f64_e32 v[139:140], v[139:140], v[143:144]
	v_add_f64_e64 v[143:144], v[105:106], -v[0:1]
	v_add_f64_e64 v[75:76], v[75:76], -v[2:3]
	v_add_f64_e32 v[107:108], v[107:108], v[131:132]
	v_add_f64_e32 v[105:106], v[109:110], v[105:106]
	v_add_f64_e64 v[57:58], v[57:58], -v[18:19]
	v_add_f64_e64 v[131:132], v[131:132], -v[24:25]
	v_add_f64_e32 v[91:92], v[103:104], v[91:92]
	global_wb scope:SCOPE_SE
	s_wait_dscnt 0x0
	s_barrier_signal -1
	v_add_f64_e32 v[67:68], v[101:102], v[67:68]
	v_fma_f64 v[123:124], v[123:124], -0.5, v[101:102]
	s_barrier_wait -1
	global_inv scope:SCOPE_SE
	v_add_f64_e32 v[79:80], v[79:80], v[81:82]
	v_add_f64_e64 v[81:82], v[51:52], -v[16:17]
	v_add_f64_e64 v[51:52], v[55:56], -v[51:52]
	v_add_f64_e32 v[87:88], v[87:88], v[89:90]
	v_add_f64_e32 v[89:90], v[97:98], v[53:54]
	v_add_f64_e64 v[97:98], v[55:56], -v[4:5]
	v_add_f64_e64 v[53:54], v[53:54], -v[65:66]
	v_add_f64_e32 v[55:56], v[111:112], v[55:56]
	v_add_f64_e32 v[115:116], v[115:116], v[119:120]
	v_fma_f64 v[119:120], v[127:128], s[10:11], v[135:136]
	v_fma_f64 v[135:136], v[127:128], s[4:5], v[135:136]
	v_fma_f64 v[101:102], v[137:138], -0.5, v[101:102]
	v_fma_f64 v[137:138], v[141:142], s[4:5], v[12:13]
	v_fma_f64 v[12:13], v[141:142], s[10:11], v[12:13]
	v_fma_f64 v[109:110], v[143:144], s[4:5], v[8:9]
	v_fma_f64 v[8:9], v[143:144], s[10:11], v[8:9]
	v_add_f64_e32 v[103:104], v[107:108], v[24:25]
	v_add_f64_e64 v[107:108], v[4:5], -v[16:17]
	v_mul_lo_u16 v25, v29, 41
	v_and_b32_e32 v29, 0xffff, v46
	v_add_f64_e32 v[0:1], v[105:106], v[0:1]
	v_add_f64_e32 v[20:21], v[91:92], v[20:21]
	v_lshrrev_b16 v24, 1, v145
	v_add_f64_e32 v[67:68], v[67:68], v[69:70]
	v_fma_f64 v[69:70], v[73:74], s[10:11], v[71:72]
	v_fma_f64 v[71:72], v[73:74], s[4:5], v[71:72]
	v_lshrrev_b16 v25, 10, v25
	v_add_nc_u16 v24, v24, v59
	v_mad_u32_u24 v29, 0xc8, v29, 0
	s_delay_alu instid0(VALU_DEP_3)
	v_mul_lo_u16 v46, v25, 25
	v_fma_f64 v[111:112], v[81:82], s[10:11], v[77:78]
	v_fma_f64 v[77:78], v[81:82], s[4:5], v[77:78]
	v_lshrrev_b16 v24, 4, v24
	v_add3_u32 v29, v29, v45, v27
	v_and_b32_e32 v25, 0xffff, v25
	v_add_f64_e32 v[65:66], v[89:90], v[65:66]
	v_fma_f64 v[89:90], v[97:98], s[4:5], v[10:11]
	v_fma_f64 v[10:11], v[97:98], s[10:11], v[10:11]
	v_add_f64_e32 v[4:5], v[55:56], v[4:5]
	v_mul_lo_u16 v59, v24, 25
	v_fma_f64 v[119:120], v[141:142], s[12:13], v[119:120]
	v_fma_f64 v[135:136], v[141:142], s[14:15], v[135:136]
	;; [unrolled: 1-line block ×12, first 2 shown]
	v_add_f64_e32 v[51:52], v[51:52], v[107:108]
	v_sub_nc_u16 v107, v32, v46
	v_add_f64_e32 v[14:15], v[0:1], v[14:15]
	v_add_f64_e32 v[6:7], v[67:68], v[6:7]
	v_fma_f64 v[69:70], v[143:144], s[12:13], v[69:70]
	v_fma_f64 v[71:72], v[143:144], s[14:15], v[71:72]
	;; [unrolled: 1-line block ×4, first 2 shown]
	v_sub_nc_u16 v59, v41, v59
	v_fma_f64 v[111:112], v[97:98], s[12:13], v[111:112]
	v_fma_f64 v[77:78], v[97:98], s[14:15], v[77:78]
	;; [unrolled: 1-line block ×4, first 2 shown]
	v_add_f64_e32 v[2:3], v[65:66], v[2:3]
	v_fma_f64 v[89:90], v[81:82], s[12:13], v[89:90]
	v_fma_f64 v[10:11], v[81:82], s[14:15], v[10:11]
	;; [unrolled: 1-line block ×4, first 2 shown]
	v_add_f64_e32 v[16:17], v[4:5], v[16:17]
	v_fma_f64 v[55:56], v[53:54], s[14:15], v[141:142]
	v_fma_f64 v[53:54], v[53:54], s[12:13], v[123:124]
	;; [unrolled: 1-line block ×17, first 2 shown]
	v_add_f64_e32 v[79:80], v[6:7], v[22:23]
	v_fma_f64 v[97:98], v[99:100], s[16:17], v[137:138]
	v_fma_f64 v[99:100], v[125:126], s[16:17], v[109:110]
	;; [unrolled: 1-line block ×7, first 2 shown]
	v_add_f64_e32 v[85:86], v[103:104], v[18:19]
	v_and_b32_e32 v18, 0xff, v107
	v_and_b32_e32 v19, 0xffff, v59
	v_fma_f64 v[55:56], v[113:114], s[16:17], v[55:56]
	v_fma_f64 v[87:88], v[113:114], s[16:17], v[53:54]
	v_add3_u32 v107, v42, v44, v27
	v_lshlrev_b32_e32 v59, 6, v18
	v_fma_f64 v[65:66], v[117:118], s[16:17], v[65:66]
	v_fma_f64 v[67:68], v[117:118], s[16:17], v[67:68]
	v_lshlrev_b32_e32 v108, 6, v19
	ds_store_2addr_b64 v29, v[2:3], v[95:96] offset1:5
	ds_store_2addr_b64 v29, v[97:98], v[12:13] offset0:10 offset1:15
	ds_store_b64 v29, v[93:94] offset:160
	ds_store_2addr_b64 v31, v[20:21], v[69:70] offset1:5
	ds_store_2addr_b64 v31, v[99:100], v[8:9] offset0:10 offset1:15
	ds_store_b64 v31, v[71:72] offset:160
	;; [unrolled: 3-line block ×3, first 2 shown]
	v_fma_f64 v[75:76], v[133:134], s[16:17], v[75:76]
	v_fma_f64 v[73:74], v[139:140], s[16:17], v[73:74]
	;; [unrolled: 1-line block ×8, first 2 shown]
	global_wb scope:SCOPE_SE
	s_wait_dscnt 0x0
	s_barrier_signal -1
	s_barrier_wait -1
	global_inv scope:SCOPE_SE
	ds_load_b64 v[4:5], v34
	ds_load_2addr_b64 v[20:23], v35 offset0:119 offset1:244
	ds_load_2addr_b64 v[42:45], v36 offset0:113 offset1:238
	;; [unrolled: 1-line block ×7, first 2 shown]
	global_wb scope:SCOPE_SE
	s_wait_dscnt 0x0
	s_barrier_signal -1
	s_barrier_wait -1
	global_inv scope:SCOPE_SE
	ds_store_2addr_b64 v29, v[79:80], v[55:56] offset1:5
	ds_store_2addr_b64 v29, v[65:66], v[67:68] offset0:10 offset1:15
	ds_store_b64 v29, v[87:88] offset:160
	ds_store_2addr_b64 v31, v[14:15], v[75:76] offset1:5
	ds_store_2addr_b64 v31, v[73:74], v[103:104] offset0:10 offset1:15
	ds_store_b64 v31, v[83:84] offset:160
	ds_store_2addr_b64 v107, v[16:17], v[91:92] offset1:5
	ds_store_2addr_b64 v107, v[81:82], v[105:106] offset0:10 offset1:15
	ds_store_b64 v107, v[57:58] offset:160
	global_wb scope:SCOPE_SE
	s_wait_dscnt 0x0
	s_barrier_signal -1
	s_barrier_wait -1
	global_inv scope:SCOPE_SE
	s_clause 0x3
	global_load_b128 v[54:57], v59, s[8:9] offset:336
	global_load_b128 v[65:68], v108, s[8:9] offset:336
	;; [unrolled: 1-line block ×4, first 2 shown]
	v_mul_lo_u16 v14, v30, 41
	s_clause 0x1
	global_load_b128 v[77:80], v59, s[8:9] offset:320
	global_load_b128 v[81:84], v59, s[8:9] offset:352
	v_lshlrev_b32_e32 v19, 3, v19
	v_lshrrev_b16 v17, 10, v14
	s_delay_alu instid0(VALU_DEP_1) | instskip(SKIP_1) | instid1(VALU_DEP_2)
	v_mul_lo_u16 v14, v17, 25
	v_and_b32_e32 v17, 0xffff, v17
	v_sub_nc_u16 v14, v64, v14
	s_delay_alu instid0(VALU_DEP_2) | instskip(NEXT) | instid1(VALU_DEP_2)
	v_mad_u32_u24 v17, 0x3e8, v17, 0
	v_and_b32_e32 v16, 0xff, v14
	s_delay_alu instid0(VALU_DEP_1)
	v_lshlrev_b32_e32 v14, 6, v16
	s_clause 0x5
	global_load_b128 v[85:88], v108, s[8:9] offset:352
	global_load_b128 v[89:92], v108, s[8:9] offset:320
	;; [unrolled: 1-line block ×6, first 2 shown]
	ds_load_2addr_b64 v[109:112], v39 offset0:107 offset1:232
	ds_load_2addr_b64 v[113:116], v40 offset0:89 offset1:214
	s_wait_loadcnt_dscnt 0xb01
	v_mul_f64_e32 v[14:15], v[109:110], v[56:57]
	v_mul_f64_e32 v[29:30], v[6:7], v[56:57]
	s_wait_loadcnt 0xa
	v_mul_f64_e32 v[129:130], v[111:112], v[67:68]
	v_mul_f64_e32 v[67:68], v[8:9], v[67:68]
	s_wait_loadcnt_dscnt 0x900
	v_mul_f64_e32 v[131:132], v[113:114], v[71:72]
	v_mul_f64_e32 v[71:72], v[10:11], v[71:72]
	s_wait_loadcnt 0x8
	v_mul_f64_e32 v[133:134], v[115:116], v[75:76]
	v_mul_f64_e32 v[75:76], v[12:13], v[75:76]
	ds_load_2addr_b64 v[56:59], v35 offset0:119 offset1:244
	ds_load_2addr_b64 v[117:120], v37 offset0:101 offset1:226
	;; [unrolled: 1-line block ×4, first 2 shown]
	s_wait_loadcnt_dscnt 0x703
	v_mul_f64_e32 v[135:136], v[58:59], v[79:80]
	v_fma_f64 v[137:138], v[6:7], v[54:55], -v[14:15]
	v_fma_f64 v[29:30], v[109:110], v[54:55], v[29:30]
	v_mul_f64_e32 v[54:55], v[22:23], v[79:80]
	s_wait_loadcnt_dscnt 0x602
	v_mul_f64_e32 v[79:80], v[119:120], v[83:84]
	v_fma_f64 v[109:110], v[8:9], v[65:66], -v[129:130]
	s_wait_loadcnt_dscnt 0x501
	v_mul_f64_e32 v[129:130], v[121:122], v[87:88]
	v_fma_f64 v[65:66], v[111:112], v[65:66], v[67:68]
	s_wait_loadcnt_dscnt 0x400
	v_mul_f64_e32 v[67:68], v[125:126], v[91:92]
	v_mul_f64_e32 v[83:84], v[48:49], v[83:84]
	;; [unrolled: 1-line block ×4, first 2 shown]
	s_wait_loadcnt 0x3
	v_mul_f64_e32 v[111:112], v[56:57], v[95:96]
	v_fma_f64 v[14:15], v[10:11], v[69:70], -v[131:132]
	v_fma_f64 v[6:7], v[113:114], v[69:70], v[71:72]
	s_wait_loadcnt 0x2
	v_mul_f64_e32 v[69:70], v[117:118], v[99:100]
	s_wait_loadcnt 0x1
	v_mul_f64_e32 v[71:72], v[127:128], v[103:104]
	v_fma_f64 v[10:11], v[12:13], v[73:74], -v[133:134]
	s_wait_loadcnt 0x0
	v_mul_f64_e32 v[12:13], v[123:124], v[107:108]
	v_mul_f64_e32 v[95:96], v[20:21], v[95:96]
	v_fma_f64 v[8:9], v[115:116], v[73:74], v[75:76]
	v_mul_f64_e32 v[73:74], v[46:47], v[99:100]
	v_mul_f64_e32 v[75:76], v[44:45], v[103:104]
	;; [unrolled: 1-line block ×3, first 2 shown]
	v_fma_f64 v[54:55], v[58:59], v[77:78], v[54:55]
	v_fma_f64 v[48:49], v[48:49], v[81:82], -v[79:80]
	v_fma_f64 v[79:80], v[22:23], v[77:78], -v[135:136]
	;; [unrolled: 1-line block ×4, first 2 shown]
	v_fma_f64 v[58:59], v[119:120], v[81:82], v[83:84]
	v_fma_f64 v[67:68], v[125:126], v[89:90], v[91:92]
	;; [unrolled: 1-line block ×3, first 2 shown]
	v_fma_f64 v[81:82], v[20:21], v[93:94], -v[111:112]
	v_mul_u32_u24_e32 v20, 0x625, v28
	ds_load_b64 v[125:126], v34
	v_fma_f64 v[46:47], v[46:47], v[97:98], -v[69:70]
	v_fma_f64 v[44:45], v[44:45], v[101:102], -v[71:72]
	;; [unrolled: 1-line block ×3, first 2 shown]
	v_fma_f64 v[56:57], v[56:57], v[93:94], v[95:96]
	v_lshrrev_b32_e32 v28, 16, v20
	v_fma_f64 v[69:70], v[117:118], v[97:98], v[73:74]
	v_fma_f64 v[71:72], v[127:128], v[101:102], v[75:76]
	v_fma_f64 v[12:13], v[123:124], v[105:106], v[99:100]
	ds_load_2addr_b64 v[20:23], v33 offset0:125 offset1:250
	v_sub_nc_u16 v31, v41, v28
	global_wb scope:SCOPE_SE
	s_wait_dscnt 0x0
	s_barrier_signal -1
	s_barrier_wait -1
	global_inv scope:SCOPE_SE
	v_lshrrev_b16 v31, 1, v31
	s_delay_alu instid0(VALU_DEP_1) | instskip(NEXT) | instid1(VALU_DEP_1)
	v_add_nc_u16 v145, v31, v28
	v_lshrrev_b16 v145, 6, v145
	v_add_f64_e32 v[89:90], v[54:55], v[6:7]
	v_add_f64_e32 v[73:74], v[137:138], v[48:49]
	;; [unrolled: 1-line block ×4, first 2 shown]
	v_add_f64_e64 v[117:118], v[79:80], -v[137:138]
	v_add_f64_e32 v[85:86], v[42:43], v[10:11]
	v_add_f64_e32 v[87:88], v[29:30], v[58:59]
	;; [unrolled: 1-line block ×4, first 2 shown]
	v_add_f64_e64 v[119:120], v[14:15], -v[48:49]
	v_add_f64_e64 v[121:122], v[137:138], -v[79:80]
	;; [unrolled: 1-line block ×3, first 2 shown]
	v_add_f64_e32 v[127:128], v[0:1], v[79:80]
	v_add_f64_e64 v[95:96], v[81:82], -v[44:45]
	v_add_f64_e32 v[99:100], v[44:45], v[46:47]
	v_add_f64_e64 v[97:98], v[52:53], -v[46:47]
	v_add_f64_e64 v[101:102], v[44:45], -v[81:82]
	v_add_f64_e64 v[103:104], v[46:47], -v[52:53]
	v_add_f64_e32 v[105:106], v[81:82], v[52:53]
	v_add_f64_e64 v[107:108], v[56:57], -v[71:72]
	v_add_f64_e64 v[111:112], v[12:13], -v[69:70]
	;; [unrolled: 1-line block ×4, first 2 shown]
	v_add_f64_e32 v[129:130], v[2:3], v[42:43]
	v_add_f64_e32 v[131:132], v[20:21], v[54:55]
	v_add_f64_e32 v[133:134], v[22:23], v[67:68]
	v_add_f64_e64 v[141:142], v[29:30], -v[54:55]
	v_add_f64_e64 v[143:144], v[58:59], -v[6:7]
	;; [unrolled: 1-line block ×6, first 2 shown]
	v_fma_f64 v[73:74], v[73:74], -0.5, v[0:1]
	v_fma_f64 v[0:1], v[75:76], -0.5, v[0:1]
	v_fma_f64 v[75:76], v[83:84], -0.5, v[2:3]
	v_add_f64_e32 v[83:84], v[4:5], v[81:82]
	v_fma_f64 v[2:3], v[85:86], -0.5, v[2:3]
	v_add_f64_e32 v[85:86], v[71:72], v[69:70]
	v_fma_f64 v[87:88], v[87:88], -0.5, v[20:21]
	v_fma_f64 v[20:21], v[89:90], -0.5, v[20:21]
	;; [unrolled: 1-line block ×4, first 2 shown]
	v_add_f64_e32 v[91:92], v[56:57], v[12:13]
	v_add_f64_e64 v[93:94], v[56:57], -v[12:13]
	v_add_f64_e32 v[117:118], v[117:118], v[119:120]
	v_add_f64_e64 v[119:120], v[29:30], -v[58:59]
	v_add_f64_e32 v[95:96], v[95:96], v[97:98]
	v_fma_f64 v[97:98], v[99:100], -0.5, v[4:5]
	v_add_f64_e32 v[101:102], v[101:102], v[103:104]
	v_add_f64_e64 v[103:104], v[71:72], -v[69:70]
	v_fma_f64 v[4:5], v[105:106], -0.5, v[4:5]
	v_add_f64_e64 v[99:100], v[42:43], -v[109:110]
	v_add_f64_e64 v[105:106], v[10:11], -v[50:51]
	v_add_f64_e32 v[107:108], v[107:108], v[111:112]
	v_add_f64_e64 v[111:112], v[109:110], -v[42:43]
	v_add_f64_e32 v[113:114], v[113:114], v[115:116]
	;; [unrolled: 2-line block ×3, first 2 shown]
	v_add_f64_e32 v[121:122], v[121:122], v[123:124]
	v_add_f64_e64 v[123:124], v[67:68], -v[8:9]
	v_add_f64_e64 v[81:82], v[81:82], -v[52:53]
	v_add_f64_e32 v[129:130], v[129:130], v[109:110]
	v_add_f64_e32 v[127:128], v[127:128], v[137:138]
	;; [unrolled: 1-line block ×3, first 2 shown]
	v_add_f64_e64 v[137:138], v[137:138], -v[48:49]
	v_add_f64_e32 v[135:136], v[135:136], v[139:140]
	v_add_f64_e64 v[139:140], v[65:66], -v[77:78]
	v_add_f64_e64 v[42:43], v[42:43], -v[10:11]
	;; [unrolled: 1-line block ×3, first 2 shown]
	v_add_f64_e32 v[30:31], v[131:132], v[29:30]
	v_add_f64_e64 v[131:132], v[67:68], -v[65:66]
	v_add_f64_e64 v[67:68], v[65:66], -v[67:68]
	v_add_f64_e32 v[65:66], v[133:134], v[65:66]
	v_add_f64_e32 v[83:84], v[83:84], v[44:45]
	v_add_f64_e64 v[44:45], v[44:45], -v[46:47]
	v_fma_f64 v[85:86], v[85:86], -0.5, v[125:126]
	v_fma_f64 v[91:92], v[91:92], -0.5, v[125:126]
	v_fma_f64 v[125:126], v[93:94], s[10:11], v[97:98]
	v_fma_f64 v[97:98], v[93:94], s[4:5], v[97:98]
	;; [unrolled: 1-line block ×4, first 2 shown]
	v_add_f64_e32 v[99:100], v[99:100], v[105:106]
	v_fma_f64 v[105:106], v[54:55], s[10:11], v[73:74]
	v_fma_f64 v[73:74], v[54:55], s[4:5], v[73:74]
	v_add_f64_e32 v[111:112], v[111:112], v[115:116]
	v_fma_f64 v[115:116], v[119:120], s[4:5], v[0:1]
	v_fma_f64 v[0:1], v[119:120], s[10:11], v[0:1]
	;; [unrolled: 3-line block ×3, first 2 shown]
	v_add_f64_e32 v[50:51], v[129:130], v[50:51]
	v_add_f64_e32 v[48:49], v[127:128], v[48:49]
	v_add_f64_e64 v[127:128], v[77:78], -v[8:9]
	v_fma_f64 v[28:29], v[139:140], s[4:5], v[2:3]
	v_fma_f64 v[2:3], v[139:140], s[10:11], v[2:3]
	v_add_f64_e32 v[30:31], v[30:31], v[58:59]
	v_add_f64_e32 v[58:59], v[65:66], v[77:78]
	;; [unrolled: 1-line block ×3, first 2 shown]
	v_add_f64_e64 v[83:84], v[8:9], -v[77:78]
	v_fma_f64 v[129:130], v[81:82], s[4:5], v[85:86]
	v_fma_f64 v[85:86], v[81:82], s[10:11], v[85:86]
	;; [unrolled: 1-line block ×22, first 2 shown]
	v_add_f64_e32 v[56:57], v[56:57], v[69:70]
	v_add_f64_e32 v[14:15], v[48:49], v[14:15]
	v_fma_f64 v[143:144], v[123:124], s[12:13], v[28:29]
	v_fma_f64 v[2:3], v[123:124], s[14:15], v[2:3]
	v_mul_lo_u16 v123, 0x7d, v145
	v_mad_u32_u24 v124, 0x3e8, v25, 0
	v_add_f64_e32 v[46:47], v[46:47], v[52:53]
	v_and_b32_e32 v145, 0xffff, v24
	v_fma_f64 v[52:53], v[44:45], s[14:15], v[129:130]
	v_fma_f64 v[44:45], v[44:45], s[12:13], v[85:86]
	v_add_f64_e32 v[24:25], v[131:132], v[83:84]
	v_add_f64_e32 v[67:68], v[67:68], v[127:128]
	v_dual_mov_b32 v29, 0 :: v_dual_lshlrev_b32 v28, 2, v64
	v_add_f64_e32 v[10:11], v[50:51], v[10:11]
	v_add_f64_e32 v[30:31], v[30:31], v[6:7]
	v_sub_nc_u16 v123, v41, v123
	v_fma_f64 v[50:51], v[95:96], s[16:17], v[125:126]
	v_fma_f64 v[83:84], v[95:96], s[16:17], v[97:98]
	;; [unrolled: 1-line block ×5, first 2 shown]
	v_lshlrev_b64_e32 v[95:96], 4, v[28:29]
	v_fma_f64 v[48:49], v[137:138], s[14:15], v[93:94]
	v_fma_f64 v[73:74], v[117:118], s[16:17], v[73:74]
	;; [unrolled: 1-line block ×6, first 2 shown]
	v_lshlrev_b32_e32 v5, 3, v16
	v_fma_f64 v[54:55], v[109:110], s[14:15], v[54:55]
	v_lshlrev_b32_e32 v16, 3, v18
	v_mad_u32_u24 v18, 0x3e8, v145, 0
	v_fma_f64 v[79:80], v[42:43], s[14:15], v[139:140]
	v_fma_f64 v[22:23], v[42:43], s[12:13], v[22:23]
	;; [unrolled: 1-line block ×3, first 2 shown]
	v_add3_u32 v101, v17, v5, v27
	v_add3_u32 v102, v124, v16, v27
	;; [unrolled: 1-line block ×3, first 2 shown]
	v_add_f64_e32 v[27:28], v[56:57], v[12:13]
	v_add_f64_e32 v[56:57], v[58:59], v[8:9]
	v_fma_f64 v[89:90], v[117:118], s[16:17], v[105:106]
	v_fma_f64 v[91:92], v[121:122], s[16:17], v[115:116]
	;; [unrolled: 1-line block ×9, first 2 shown]
	v_and_b32_e32 v4, 0xffff, v123
	ds_store_2addr_b64 v101, v[46:47], v[50:51] offset1:25
	ds_store_2addr_b64 v101, v[85:86], v[87:88] offset0:50 offset1:75
	ds_store_b64 v101, v[83:84] offset:800
	ds_store_2addr_b64 v102, v[14:15], v[89:90] offset1:25
	ds_store_2addr_b64 v102, v[91:92], v[0:1] offset0:50 offset1:75
	ds_store_b64 v102, v[73:74] offset:800
	;; [unrolled: 3-line block ×3, first 2 shown]
	v_fma_f64 v[65:66], v[113:114], s[16:17], v[65:66]
	v_fma_f64 v[69:70], v[113:114], s[16:17], v[69:70]
	;; [unrolled: 1-line block ×10, first 2 shown]
	v_lshlrev_b32_e32 v103, 6, v4
	global_wb scope:SCOPE_SE
	s_wait_dscnt 0x0
	s_barrier_signal -1
	s_barrier_wait -1
	global_inv scope:SCOPE_SE
	ds_load_b64 v[109:110], v34
	ds_load_2addr_b64 v[5:8], v35 offset0:119 offset1:244
	ds_load_2addr_b64 v[9:12], v36 offset0:113 offset1:238
	;; [unrolled: 1-line block ×7, first 2 shown]
	global_wb scope:SCOPE_SE
	s_wait_dscnt 0x0
	s_barrier_signal -1
	s_barrier_wait -1
	global_inv scope:SCOPE_SE
	ds_store_2addr_b64 v101, v[27:28], v[52:53] offset1:25
	ds_store_2addr_b64 v101, v[65:66], v[69:70] offset0:50 offset1:75
	ds_store_b64 v101, v[58:59] offset:800
	ds_store_2addr_b64 v102, v[30:31], v[48:49] offset1:25
	ds_store_2addr_b64 v102, v[81:82], v[97:98] offset0:50 offset1:75
	ds_store_b64 v102, v[77:78] offset:800
	;; [unrolled: 3-line block ×3, first 2 shown]
	v_add_co_u32 v27, s0, s8, v95
	s_wait_alu 0xf1ff
	v_add_co_ci_u32_e64 v28, s0, s9, v96, s0
	global_wb scope:SCOPE_SE
	s_wait_dscnt 0x0
	s_barrier_signal -1
	s_barrier_wait -1
	global_inv scope:SCOPE_SE
	s_clause 0x7
	global_load_b128 v[46:49], v103, s[8:9] offset:1920
	global_load_b128 v[50:53], v[27:28], off offset:1936
	global_load_b128 v[54:57], v[27:28], off offset:1952
	global_load_b128 v[65:68], v[27:28], off offset:1920
	global_load_b128 v[69:72], v[27:28], off offset:1968
	global_load_b128 v[73:76], v103, s[8:9] offset:1936
	global_load_b128 v[77:80], v103, s[8:9] offset:1968
	;; [unrolled: 1-line block ×3, first 2 shown]
	ds_load_2addr_b64 v[85:88], v36 offset0:113 offset1:238
	ds_load_2addr_b64 v[89:92], v37 offset0:101 offset1:226
	;; [unrolled: 1-line block ×6, first 2 shown]
	s_wait_loadcnt_dscnt 0x601
	v_mul_f64_e32 v[117:118], v[101:102], v[52:53]
	s_wait_loadcnt 0x5
	v_mul_f64_e32 v[111:112], v[89:90], v[56:57]
	v_mul_f64_e32 v[58:59], v[91:92], v[56:57]
	s_wait_loadcnt 0x4
	v_mul_f64_e32 v[113:114], v[93:94], v[67:68]
	s_wait_loadcnt 0x3
	v_mul_f64_e32 v[115:116], v[99:100], v[71:72]
	v_mul_f64_e32 v[27:28], v[85:86], v[48:49]
	;; [unrolled: 1-line block ×4, first 2 shown]
	s_wait_dscnt 0x0
	v_mul_f64_e32 v[123:124], v[105:106], v[71:72]
	v_mul_f64_e32 v[127:128], v[95:96], v[67:68]
	s_wait_loadcnt 0x2
	v_mul_f64_e32 v[119:120], v[103:104], v[75:76]
	s_wait_loadcnt 0x1
	;; [unrolled: 2-line block ×3, first 2 shown]
	v_mul_f64_e32 v[129:130], v[97:98], v[83:84]
	v_mul_f64_e32 v[75:76], v[23:24], v[75:76]
	;; [unrolled: 1-line block ×7, first 2 shown]
	v_fma_f64 v[21:22], v[21:22], v[50:51], -v[117:118]
	v_fma_f64 v[15:16], v[15:16], v[54:55], -v[58:59]
	;; [unrolled: 1-line block ×4, first 2 shown]
	v_fma_f64 v[27:28], v[85:86], v[46:47], v[30:31]
	v_mul_f64_e32 v[46:47], v[5:6], v[67:68]
	v_fma_f64 v[48:49], v[11:12], v[50:51], -v[48:49]
	v_mul_f64_e32 v[11:12], v[11:12], v[52:53]
	v_mul_f64_e32 v[52:53], v[13:14], v[56:57]
	v_fma_f64 v[13:14], v[13:14], v[54:55], -v[111:112]
	v_mul_f64_e32 v[56:57], v[19:20], v[71:72]
	v_mul_f64_e32 v[30:31], v[44:45], v[79:80]
	v_fma_f64 v[19:20], v[19:20], v[69:70], -v[115:116]
	v_fma_f64 v[42:43], v[42:43], v[69:70], -v[123:124]
	;; [unrolled: 1-line block ×6, first 2 shown]
	v_fma_f64 v[67:68], v[103:104], v[73:74], v[75:76]
	v_fma_f64 v[73:74], v[101:102], v[50:51], v[121:122]
	;; [unrolled: 1-line block ×6, first 2 shown]
	ds_load_2addr_b64 v[5:8], v33 offset0:125 offset1:250
	v_add_f64_e32 v[115:116], v[109:110], v[58:59]
	v_fma_f64 v[46:47], v[93:94], v[65:66], v[46:47]
	v_add_f64_e32 v[65:66], v[21:22], v[15:16]
	v_fma_f64 v[11:12], v[87:88], v[50:51], v[11:12]
	v_fma_f64 v[50:51], v[89:90], v[54:55], v[52:53]
	v_add_f64_e32 v[54:55], v[48:49], v[13:14]
	v_fma_f64 v[52:53], v[99:100], v[69:70], v[56:57]
	v_fma_f64 v[30:31], v[107:108], v[77:78], v[30:31]
	v_add_f64_e32 v[56:57], v[58:59], v[19:20]
	v_add_f64_e64 v[95:96], v[58:59], -v[48:49]
	v_add_f64_e32 v[69:70], v[71:72], v[42:43]
	v_add_f64_e64 v[97:98], v[19:20], -v[13:14]
	v_add_f64_e32 v[77:78], v[23:24], v[17:18]
	v_add_f64_e32 v[83:84], v[9:10], v[44:45]
	v_add_f64_e64 v[101:102], v[48:49], -v[58:59]
	v_add_f64_e64 v[103:104], v[13:14], -v[19:20]
	v_add_f64_e32 v[87:88], v[73:74], v[79:80]
	v_add_f64_e32 v[105:106], v[0:1], v[71:72]
	;; [unrolled: 1-line block ×4, first 2 shown]
	v_add_f64_e64 v[121:122], v[71:72], -v[21:22]
	v_add_f64_e64 v[123:124], v[42:43], -v[15:16]
	v_add_f64_e64 v[135:136], v[85:86], -v[75:76]
	v_add_f64_e64 v[141:142], v[73:74], -v[79:80]
	v_add_f64_e32 v[107:108], v[2:3], v[9:10]
	v_add_f64_e64 v[133:134], v[15:16], -v[42:43]
	v_add_f64_e64 v[137:138], v[9:10], -v[23:24]
	v_add_f64_e64 v[139:140], v[44:45], -v[17:18]
	ds_load_b64 v[99:100], v34
	s_wait_dscnt 0x1
	v_add_f64_e32 v[111:112], v[5:6], v[85:86]
	v_add_f64_e64 v[58:59], v[58:59], -v[19:20]
	v_add_f64_e32 v[113:114], v[7:8], v[27:28]
	global_wb scope:SCOPE_SE
	s_wait_dscnt 0x0
	s_barrier_signal -1
	s_barrier_wait -1
	v_add_f64_e32 v[115:116], v[115:116], v[48:49]
	v_add_f64_e64 v[48:49], v[48:49], -v[13:14]
	global_inv scope:SCOPE_SE
	v_fma_f64 v[65:66], v[65:66], -0.5, v[0:1]
	v_add_f64_e64 v[117:118], v[46:47], -v[11:12]
	v_add_f64_e32 v[127:128], v[11:12], v[50:51]
	v_fma_f64 v[54:55], v[54:55], -0.5, v[109:110]
	v_add_f64_e64 v[125:126], v[46:47], -v[52:53]
	v_add_f64_e32 v[93:94], v[27:28], v[30:31]
	v_add_f64_e32 v[129:130], v[46:47], v[52:53]
	v_add_f64_e64 v[131:132], v[11:12], -v[50:51]
	v_fma_f64 v[56:57], v[56:57], -0.5, v[109:110]
	v_add_f64_e64 v[119:120], v[52:53], -v[50:51]
	v_fma_f64 v[0:1], v[69:70], -0.5, v[0:1]
	;; [unrolled: 2-line block ×3, first 2 shown]
	v_fma_f64 v[2:3], v[83:84], -0.5, v[2:3]
	v_add_f64_e64 v[83:84], v[27:28], -v[30:31]
	v_add_f64_e64 v[77:78], v[67:68], -v[81:82]
	v_add_f64_e32 v[95:96], v[95:96], v[97:98]
	v_add_f64_e32 v[97:98], v[99:100], v[46:47]
	;; [unrolled: 1-line block ×3, first 2 shown]
	v_fma_f64 v[87:88], v[87:88], -0.5, v[5:6]
	v_fma_f64 v[5:6], v[89:90], -0.5, v[5:6]
	v_fma_f64 v[89:90], v[91:92], -0.5, v[7:8]
	v_add_f64_e64 v[91:92], v[23:24], -v[9:10]
	v_add_f64_e32 v[105:106], v[105:106], v[21:22]
	v_add_f64_e64 v[21:22], v[21:22], -v[15:16]
	v_add_f64_e64 v[71:72], v[71:72], -v[42:43]
	v_add_f64_e32 v[121:122], v[121:122], v[123:124]
	v_add_f64_e32 v[107:108], v[107:108], v[23:24]
	v_add_f64_e64 v[9:10], v[9:10], -v[44:45]
	v_add_f64_e64 v[23:24], v[23:24], -v[17:18]
	v_add_f64_e32 v[137:138], v[137:138], v[139:140]
	v_add_f64_e64 v[46:47], v[11:12], -v[46:47]
	v_add_f64_e32 v[13:14], v[115:116], v[13:14]
	v_add_f64_e64 v[115:116], v[79:80], -v[75:76]
	v_fma_f64 v[127:128], v[127:128], -0.5, v[99:100]
	v_fma_f64 v[103:104], v[125:126], s[10:11], v[54:55]
	v_fma_f64 v[54:55], v[125:126], s[4:5], v[54:55]
	v_fma_f64 v[7:8], v[93:94], -0.5, v[7:8]
	v_add_f64_e64 v[93:94], v[17:18], -v[44:45]
	v_fma_f64 v[99:100], v[129:130], -0.5, v[99:100]
	v_fma_f64 v[129:130], v[131:132], s[4:5], v[56:57]
	v_fma_f64 v[56:57], v[131:132], s[10:11], v[56:57]
	v_add_f64_e32 v[117:118], v[117:118], v[119:120]
	v_fma_f64 v[119:120], v[135:136], s[10:11], v[65:66]
	v_fma_f64 v[65:66], v[135:136], s[4:5], v[65:66]
	;; [unrolled: 1-line block ×4, first 2 shown]
	v_add_f64_e32 v[109:110], v[109:110], v[133:134]
	v_fma_f64 v[133:134], v[83:84], s[10:11], v[69:70]
	v_fma_f64 v[69:70], v[83:84], s[4:5], v[69:70]
	;; [unrolled: 1-line block ×4, first 2 shown]
	v_add_f64_e32 v[11:12], v[97:98], v[11:12]
	v_add_f64_e64 v[97:98], v[85:86], -v[73:74]
	v_add_f64_e64 v[85:86], v[73:74], -v[85:86]
	v_add_f64_e32 v[73:74], v[111:112], v[73:74]
	v_add_f64_e64 v[111:112], v[27:28], -v[67:68]
	v_add_f64_e64 v[27:28], v[67:68], -v[27:28]
	v_add_f64_e32 v[67:68], v[113:114], v[67:68]
	v_add_f64_e64 v[113:114], v[75:76], -v[79:80]
	v_add_f64_e32 v[15:16], v[105:106], v[15:16]
	;; [unrolled: 2-line block ×4, first 2 shown]
	v_fma_f64 v[103:104], v[131:132], s[12:13], v[103:104]
	v_fma_f64 v[54:55], v[131:132], s[14:15], v[54:55]
	v_fma_f64 v[131:132], v[58:59], s[4:5], v[127:128]
	v_add_f64_e32 v[91:92], v[91:92], v[93:94]
	v_add_f64_e64 v[93:94], v[50:51], -v[52:53]
	v_fma_f64 v[129:130], v[125:126], s[12:13], v[129:130]
	v_fma_f64 v[56:57], v[125:126], s[14:15], v[56:57]
	;; [unrolled: 1-line block ×21, first 2 shown]
	v_add_f64_e32 v[11:12], v[11:12], v[50:51]
	v_add_f64_e32 v[50:51], v[73:74], v[79:80]
	;; [unrolled: 1-line block ×7, first 2 shown]
	v_fma_f64 v[54:55], v[95:96], s[16:17], v[54:55]
	v_fma_f64 v[19:20], v[48:49], s[14:15], v[131:132]
	v_add_f64_e32 v[46:47], v[46:47], v[93:94]
	v_add_f64_e32 v[93:94], v[97:98], v[113:114]
	;; [unrolled: 1-line block ×3, first 2 shown]
	v_fma_f64 v[73:74], v[58:59], s[14:15], v[125:126]
	v_fma_f64 v[58:59], v[58:59], s[12:13], v[99:100]
	;; [unrolled: 1-line block ×11, first 2 shown]
	v_add_nc_u32_e32 v99, 0xc00, v33
	v_fma_f64 v[69:70], v[137:138], s[16:17], v[69:70]
	v_fma_f64 v[44:45], v[23:24], s[14:15], v[77:78]
	;; [unrolled: 1-line block ×11, first 2 shown]
	v_add_f64_e32 v[52:53], v[11:12], v[52:53]
	v_add_f64_e32 v[50:51], v[50:51], v[75:76]
	;; [unrolled: 1-line block ×3, first 2 shown]
	v_lshl_add_u32 v95, v4, 3, v26
	v_add_nc_u32_e32 v96, 0x400, v33
	v_add_nc_u32_e32 v100, 0x1400, v33
	;; [unrolled: 1-line block ×3, first 2 shown]
	s_delay_alu instid0(VALU_DEP_4)
	v_add_nc_u32_e32 v102, 0x2400, v95
	v_add_nc_u32_e32 v103, 0x2c00, v95
	v_fma_f64 v[75:76], v[117:118], s[16:17], v[19:20]
	ds_store_2addr_b64 v33, v[13:14], v[9:10] offset1:125
	ds_store_2addr_b64 v96, v[77:78], v[56:57] offset0:122 offset1:247
	ds_store_2addr_b64 v99, v[54:55], v[15:16] offset0:116 offset1:241
	;; [unrolled: 1-line block ×6, first 2 shown]
	ds_store_b64 v95, v[69:70] offset:14000
	v_fma_f64 v[73:74], v[46:47], s[16:17], v[73:74]
	v_fma_f64 v[46:47], v[46:47], s[16:17], v[58:59]
	;; [unrolled: 1-line block ×11, first 2 shown]
	global_wb scope:SCOPE_SE
	s_wait_dscnt 0x0
	s_barrier_signal -1
	s_barrier_wait -1
	global_inv scope:SCOPE_SE
	ds_load_b64 v[30:31], v34
	ds_load_2addr_b64 v[16:19], v36 offset0:113 offset1:238
	ds_load_2addr_b64 v[8:11], v37 offset0:101 offset1:226
	;; [unrolled: 1-line block ×7, first 2 shown]
	global_wb scope:SCOPE_SE
	s_wait_dscnt 0x0
	s_barrier_signal -1
	s_barrier_wait -1
	global_inv scope:SCOPE_SE
	ds_store_2addr_b64 v33, v[52:53], v[75:76] offset1:125
	ds_store_2addr_b64 v96, v[73:74], v[46:47] offset0:122 offset1:247
	ds_store_2addr_b64 v99, v[48:49], v[50:51] offset0:116 offset1:241
	;; [unrolled: 1-line block ×6, first 2 shown]
	ds_store_b64 v95, v[93:94] offset:14000
	global_wb scope:SCOPE_SE
	s_wait_dscnt 0x0
	s_barrier_signal -1
	s_barrier_wait -1
	global_inv scope:SCOPE_SE
	s_and_saveexec_b32 s0, vcc_lo
	s_cbranch_execz .LBB0_15
; %bb.14:
	v_dual_mov_b32 v43, v29 :: v_dual_lshlrev_b32 v42, 1, v64
	v_add_nc_u32_e32 v131, 0x7d, v64
	v_add_nc_u32_e32 v132, 0xfa, v64
	v_mul_lo_u32 v63, s2, v63
	s_delay_alu instid0(VALU_DEP_4) | instskip(SKIP_3) | instid1(VALU_DEP_4)
	v_dual_mov_b32 v59, v29 :: v_dual_add_nc_u32 v28, 0x3e8, v42
	v_lshlrev_b64_e32 v[43:44], 4, v[42:43]
	v_add_nc_u32_e32 v134, 0x1f4, v64
	v_mul_hi_u32 v113, 0xd1b71759, v132
	v_lshlrev_b64_e32 v[49:50], 4, v[28:29]
	v_add_nc_u32_e32 v28, 0x2ee, v42
	v_add_nc_u32_e32 v133, 0x177, v64
	v_add_co_u32 v45, vcc_lo, s8, v43
	s_wait_alu 0xfffd
	v_add_co_ci_u32_e32 v46, vcc_lo, s9, v44, vcc_lo
	v_lshlrev_b64_e32 v[51:52], 4, v[28:29]
	v_lshlrev_b32_e32 v28, 1, v41
	v_add_co_u32 v53, vcc_lo, s8, v49
	s_wait_alu 0xfffd
	v_add_co_ci_u32_e32 v54, vcc_lo, s9, v50, vcc_lo
	s_delay_alu instid0(VALU_DEP_3) | instskip(SKIP_4) | instid1(VALU_DEP_3)
	v_lshlrev_b64_e32 v[57:58], 4, v[28:29]
	v_lshlrev_b32_e32 v28, 1, v32
	v_add_co_u32 v69, vcc_lo, s8, v51
	s_wait_alu 0xfffd
	v_add_co_ci_u32_e32 v70, vcc_lo, s9, v52, vcc_lo
	v_lshlrev_b64_e32 v[73:74], 4, v[28:29]
	v_add_co_u32 v57, vcc_lo, s8, v57
	s_wait_alu 0xfffd
	v_add_co_ci_u32_e32 v58, vcc_lo, s9, v58, vcc_lo
	s_clause 0x1
	global_load_b128 v[41:44], v[45:46], off offset:9936
	global_load_b128 v[45:48], v[45:46], off offset:9920
	v_add_co_u32 v85, vcc_lo, s8, v73
	s_wait_alu 0xfffd
	v_add_co_ci_u32_e32 v86, vcc_lo, s9, v74, vcc_lo
	s_clause 0x7
	global_load_b128 v[49:52], v[53:54], off offset:9920
	global_load_b128 v[53:56], v[53:54], off offset:9936
	;; [unrolled: 1-line block ×8, first 2 shown]
	ds_load_2addr_b64 v[89:92], v36 offset0:113 offset1:238
	ds_load_2addr_b64 v[93:96], v37 offset0:101 offset1:226
	;; [unrolled: 1-line block ×7, first 2 shown]
	ds_load_b64 v[32:33], v34
	v_mul_hi_u32 v34, 0xd1b71759, v64
	v_mul_lo_u32 v28, s3, v62
	v_mad_co_u64_u32 v[57:58], null, s2, v62, 0
	v_lshlrev_b64_e32 v[39:40], 4, v[60:61]
	v_mov_b32_e32 v60, v29
	v_mul_hi_u32 v62, 0xd1b71759, v131
	v_lshrrev_b32_e32 v136, 9, v113
	v_lshrrev_b32_e32 v34, 9, v34
	s_mov_b32 s0, 0xe8584caa
	v_add3_u32 v58, v58, v63, v28
	v_mul_hi_u32 v28, 0xd1b71759, v134
	s_mov_b32 s1, 0x3febb67a
	v_mul_u32_u24_e32 v34, 0x271, v34
	v_lshrrev_b32_e32 v135, 9, v62
	v_lshlrev_b64_e32 v[57:58], 4, v[57:58]
	s_mov_b32 s3, 0xbfebb67a
	s_wait_alu 0xfffe
	s_mov_b32 s2, s0
	v_mov_b32_e32 v61, v29
	v_lshrrev_b32_e32 v138, 9, v28
	v_sub_nc_u32_e32 v28, v64, v34
	v_mul_u32_u24_e32 v34, 0x271, v135
	v_mul_u32_u24_e32 v64, 0x271, v136
	v_add_co_u32 v57, vcc_lo, s6, v57
	s_wait_alu 0xfffd
	v_add_co_ci_u32_e32 v58, vcc_lo, s7, v58, vcc_lo
	v_sub_nc_u32_e32 v34, v131, v34
	v_sub_nc_u32_e32 v131, v132, v64
	v_mov_b32_e32 v64, v29
	v_mul_hi_u32 v114, 0xd1b71759, v133
	v_mul_u32_u24_e32 v140, 0x271, v138
	s_delay_alu instid0(VALU_DEP_1) | instskip(NEXT) | instid1(VALU_DEP_3)
	v_sub_nc_u32_e32 v134, v134, v140
	v_lshrrev_b32_e32 v137, 9, v114
	s_delay_alu instid0(VALU_DEP_1) | instskip(NEXT) | instid1(VALU_DEP_1)
	v_mul_u32_u24_e32 v139, 0x271, v137
	v_sub_nc_u32_e32 v132, v133, v139
	v_lshlrev_b32_e32 v133, 4, v28
	v_mad_u32_u24 v28, 0x753, v135, v34
	v_add_co_u32 v135, vcc_lo, v57, v39
	s_wait_alu 0xfffd
	v_add_co_ci_u32_e32 v139, vcc_lo, v58, v40, vcc_lo
	s_delay_alu instid0(VALU_DEP_3)
	v_add_nc_u32_e32 v58, 0x271, v28
	v_lshlrev_b64_e32 v[39:40], 4, v[28:29]
	v_add_nc_u32_e32 v28, 0x4e2, v28
	s_wait_loadcnt_dscnt 0x906
	v_mul_f64_e32 v[113:114], v[95:96], v[43:44]
	s_wait_loadcnt 0x8
	v_mul_f64_e32 v[62:63], v[89:90], v[47:48]
	v_mul_f64_e32 v[47:48], v[16:17], v[47:48]
	;; [unrolled: 1-line block ×3, first 2 shown]
	s_wait_loadcnt_dscnt 0x303
	v_mul_f64_e32 v[123:124], v[105:106], v[75:76]
	v_mul_f64_e32 v[119:120], v[97:98], v[67:68]
	;; [unrolled: 1-line block ×6, first 2 shown]
	s_wait_loadcnt 0x2
	v_mul_f64_e32 v[125:126], v[22:23], v[79:80]
	s_wait_loadcnt 0x1
	v_mul_f64_e32 v[127:128], v[18:19], v[83:84]
	;; [unrolled: 2-line block ×3, first 2 shown]
	v_mul_f64_e32 v[83:84], v[91:92], v[83:84]
	s_wait_dscnt 0x2
	v_mul_f64_e32 v[87:88], v[35:36], v[87:88]
	v_mul_f64_e32 v[79:80], v[37:38], v[79:80]
	;; [unrolled: 1-line block ×6, first 2 shown]
	v_fma_f64 v[10:11], v[10:11], v[41:42], -v[113:114]
	v_fma_f64 v[16:17], v[16:17], v[45:46], -v[62:63]
	v_fma_f64 v[45:46], v[45:46], v[89:90], v[47:48]
	v_fma_f64 v[41:42], v[41:42], v[95:96], v[43:44]
	v_fma_f64 v[24:25], v[24:25], v[73:74], -v[123:124]
	v_fma_f64 v[12:13], v[12:13], v[65:66], -v[119:120]
	v_fma_f64 v[65:66], v[65:66], v[97:98], v[67:68]
	v_fma_f64 v[26:27], v[26:27], v[69:70], -v[121:122]
	v_fma_f64 v[62:63], v[69:70], v[107:108], v[71:72]
	v_fma_f64 v[67:68], v[73:74], v[105:106], v[75:76]
	;; [unrolled: 1-line block ×5, first 2 shown]
	v_fma_f64 v[18:19], v[18:19], v[81:82], -v[83:84]
	v_fma_f64 v[20:21], v[20:21], v[85:86], -v[87:88]
	;; [unrolled: 1-line block ×3, first 2 shown]
	v_fma_f64 v[43:44], v[49:50], v[93:94], v[115:116]
	v_fma_f64 v[47:48], v[53:54], v[99:100], v[117:118]
	v_fma_f64 v[8:9], v[8:9], v[49:50], -v[51:52]
	v_fma_f64 v[14:15], v[14:15], v[53:54], -v[55:56]
	v_add_co_u32 v71, vcc_lo, v135, v133
	v_lshlrev_b64_e32 v[49:50], 4, v[58:59]
	s_wait_alu 0xfffd
	v_add_co_ci_u32_e32 v72, vcc_lo, 0, v139, vcc_lo
	v_lshlrev_b64_e32 v[51:52], 4, v[28:29]
	v_add_co_u32 v73, vcc_lo, v135, v39
	s_wait_alu 0xfffd
	v_add_co_ci_u32_e32 v74, vcc_lo, v139, v40, vcc_lo
	v_add_co_u32 v75, vcc_lo, v135, v49
	s_wait_alu 0xfffd
	v_add_co_ci_u32_e32 v76, vcc_lo, v139, v50, vcc_lo
	;; [unrolled: 3-line block ×3, first 2 shown]
	v_add_f64_e32 v[55:56], v[16:17], v[10:11]
	v_mad_u32_u24 v28, 0x753, v136, v131
	v_add_f64_e32 v[51:52], v[45:46], v[41:42]
	s_wait_dscnt 0x0
	v_add_f64_e32 v[97:98], v[45:46], v[32:33]
	v_add_f64_e64 v[45:46], v[45:46], -v[41:42]
	v_add_f64_e32 v[119:120], v[6:7], v[24:25]
	v_add_nc_u32_e32 v59, 0x271, v28
	v_add_f64_e32 v[85:86], v[26:27], v[12:13]
	v_add_f64_e32 v[79:80], v[62:63], v[65:66]
	v_lshlrev_b64_e32 v[39:40], 4, v[28:29]
	v_add_f64_e32 v[81:82], v[67:68], v[37:38]
	v_lshlrev_b64_e32 v[49:50], 4, v[59:60]
	v_add_f64_e32 v[83:84], v[69:70], v[34:35]
	v_add_f64_e64 v[107:108], v[26:27], -v[12:13]
	v_add_f64_e32 v[87:88], v[18:19], v[20:21]
	v_add_f64_e32 v[89:90], v[24:25], v[22:23]
	v_add_co_u32 v91, vcc_lo, v135, v39
	v_add_f64_e32 v[57:58], v[43:44], v[47:48]
	v_add_f64_e32 v[93:94], v[8:9], v[14:15]
	s_wait_alu 0xfffd
	v_add_co_ci_u32_e32 v92, vcc_lo, v139, v40, vcc_lo
	v_add_co_u32 v95, vcc_lo, v135, v49
	s_wait_alu 0xfffd
	v_add_co_ci_u32_e32 v96, vcc_lo, v139, v50, vcc_lo
	v_add_f64_e64 v[49:50], v[16:17], -v[10:11]
	v_add_f64_e32 v[16:17], v[30:31], v[16:17]
	v_add_f64_e64 v[99:100], v[8:9], -v[14:15]
	v_add_f64_e32 v[8:9], v[2:3], v[8:9]
	v_add_f64_e32 v[26:27], v[0:1], v[26:27]
	;; [unrolled: 1-line block ×5, first 2 shown]
	v_add_f64_e64 v[69:70], v[69:70], -v[34:35]
	v_add_f64_e32 v[117:118], v[67:68], v[111:112]
	v_add_f64_e64 v[67:68], v[67:68], -v[37:38]
	v_add_f64_e32 v[113:114], v[62:63], v[101:102]
	v_add_f64_e64 v[115:116], v[62:63], -v[65:66]
	v_add_nc_u32_e32 v28, 0x4e2, v28
	v_fma_f64 v[32:33], v[51:52], -0.5, v[32:33]
	v_add_f64_e64 v[51:52], v[24:25], -v[22:23]
	v_fma_f64 v[24:25], v[55:56], -0.5, v[30:31]
	v_add_f64_e64 v[30:31], v[18:19], -v[20:21]
	v_lshlrev_b64_e32 v[53:54], 4, v[28:29]
	v_fma_f64 v[85:86], v[85:86], -0.5, v[0:1]
	v_fma_f64 v[55:56], v[79:80], -0.5, v[101:102]
	v_add_f64_e64 v[101:102], v[43:44], -v[47:48]
	v_fma_f64 v[79:80], v[81:82], -0.5, v[111:112]
	v_mad_u32_u24 v28, 0x753, v137, v132
	v_fma_f64 v[81:82], v[83:84], -0.5, v[109:110]
	v_fma_f64 v[83:84], v[87:88], -0.5, v[4:5]
	;; [unrolled: 1-line block ×3, first 2 shown]
	s_delay_alu instid0(VALU_DEP_4)
	v_lshlrev_b64_e32 v[39:40], 4, v[28:29]
	v_add_co_u32 v89, vcc_lo, v135, v53
	v_fma_f64 v[58:59], v[57:58], -0.5, v[103:104]
	v_fma_f64 v[93:94], v[93:94], -0.5, v[2:3]
	v_add_f64_e32 v[2:3], v[97:98], v[41:42]
	s_wait_alu 0xfffd
	v_add_co_ci_u32_e32 v90, vcc_lo, v139, v54, vcc_lo
	v_add_co_u32 v111, vcc_lo, v135, v39
	s_wait_alu 0xfffd
	v_add_co_ci_u32_e32 v112, vcc_lo, v139, v40, vcc_lo
	v_add_f64_e32 v[0:1], v[16:17], v[10:11]
	v_add_f64_e32 v[4:5], v[8:9], v[14:15]
	;; [unrolled: 1-line block ×8, first 2 shown]
	v_add_nc_u32_e32 v60, 0x271, v28
	v_add_f64_e32 v[10:11], v[65:66], v[113:114]
	v_add_nc_u32_e32 v28, 0x4e2, v28
	s_wait_alu 0xfffe
	v_fma_f64 v[26:27], v[49:50], s[2:3], v[32:33]
	v_fma_f64 v[22:23], v[49:50], s[0:1], v[32:33]
	;; [unrolled: 1-line block ×4, first 2 shown]
	v_lshlrev_b64_e32 v[103:104], 4, v[60:61]
	v_fma_f64 v[34:35], v[115:116], s[2:3], v[85:86]
	v_fma_f64 v[36:37], v[107:108], s[0:1], v[55:56]
	;; [unrolled: 1-line block ×16, first 2 shown]
	v_lshlrev_b64_e32 v[109:110], 4, v[28:29]
	v_mad_u32_u24 v28, 0x753, v138, v134
	v_add_co_u32 v65, vcc_lo, v135, v103
	s_wait_alu 0xfffd
	v_add_co_ci_u32_e32 v66, vcc_lo, v139, v104, vcc_lo
	s_delay_alu instid0(VALU_DEP_3) | instskip(SKIP_3) | instid1(VALU_DEP_4)
	v_add_nc_u32_e32 v63, 0x271, v28
	v_lshlrev_b64_e32 v[125:126], 4, v[28:29]
	v_add_nc_u32_e32 v28, 0x4e2, v28
	v_add_co_u32 v67, vcc_lo, v135, v109
	v_lshlrev_b64_e32 v[62:63], 4, v[63:64]
	s_wait_alu 0xfffd
	v_add_co_ci_u32_e32 v68, vcc_lo, v139, v110, vcc_lo
	v_lshlrev_b64_e32 v[28:29], 4, v[28:29]
	v_add_co_u32 v69, vcc_lo, v135, v125
	s_wait_alu 0xfffd
	v_add_co_ci_u32_e32 v70, vcc_lo, v139, v126, vcc_lo
	v_add_co_u32 v62, vcc_lo, v135, v62
	s_wait_alu 0xfffd
	v_add_co_ci_u32_e32 v63, vcc_lo, v139, v63, vcc_lo
	;; [unrolled: 3-line block ×3, first 2 shown]
	s_clause 0xe
	global_store_b128 v[71:72], v[0:3], off
	global_store_b128 v[71:72], v[24:27], off offset:10000
	global_store_b128 v[71:72], v[20:23], off offset:20000
	global_store_b128 v[73:74], v[16:19], off
	global_store_b128 v[75:76], v[46:49], off
	;; [unrolled: 1-line block ×12, first 2 shown]
.LBB0_15:
	s_nop 0
	s_sendmsg sendmsg(MSG_DEALLOC_VGPRS)
	s_endpgm
	.section	.rodata,"a",@progbits
	.p2align	6, 0x0
	.amdhsa_kernel fft_rtc_fwd_len1875_factors_5_5_5_5_3_wgs_250_tpt_125_halfLds_dp_op_CI_CI_unitstride_sbrr_dirReg
		.amdhsa_group_segment_fixed_size 0
		.amdhsa_private_segment_fixed_size 0
		.amdhsa_kernarg_size 104
		.amdhsa_user_sgpr_count 2
		.amdhsa_user_sgpr_dispatch_ptr 0
		.amdhsa_user_sgpr_queue_ptr 0
		.amdhsa_user_sgpr_kernarg_segment_ptr 1
		.amdhsa_user_sgpr_dispatch_id 0
		.amdhsa_user_sgpr_private_segment_size 0
		.amdhsa_wavefront_size32 1
		.amdhsa_uses_dynamic_stack 0
		.amdhsa_enable_private_segment 0
		.amdhsa_system_sgpr_workgroup_id_x 1
		.amdhsa_system_sgpr_workgroup_id_y 0
		.amdhsa_system_sgpr_workgroup_id_z 0
		.amdhsa_system_sgpr_workgroup_info 0
		.amdhsa_system_vgpr_workitem_id 0
		.amdhsa_next_free_vgpr 146
		.amdhsa_next_free_sgpr 39
		.amdhsa_reserve_vcc 1
		.amdhsa_float_round_mode_32 0
		.amdhsa_float_round_mode_16_64 0
		.amdhsa_float_denorm_mode_32 3
		.amdhsa_float_denorm_mode_16_64 3
		.amdhsa_fp16_overflow 0
		.amdhsa_workgroup_processor_mode 1
		.amdhsa_memory_ordered 1
		.amdhsa_forward_progress 0
		.amdhsa_round_robin_scheduling 0
		.amdhsa_exception_fp_ieee_invalid_op 0
		.amdhsa_exception_fp_denorm_src 0
		.amdhsa_exception_fp_ieee_div_zero 0
		.amdhsa_exception_fp_ieee_overflow 0
		.amdhsa_exception_fp_ieee_underflow 0
		.amdhsa_exception_fp_ieee_inexact 0
		.amdhsa_exception_int_div_zero 0
	.end_amdhsa_kernel
	.text
.Lfunc_end0:
	.size	fft_rtc_fwd_len1875_factors_5_5_5_5_3_wgs_250_tpt_125_halfLds_dp_op_CI_CI_unitstride_sbrr_dirReg, .Lfunc_end0-fft_rtc_fwd_len1875_factors_5_5_5_5_3_wgs_250_tpt_125_halfLds_dp_op_CI_CI_unitstride_sbrr_dirReg
                                        ; -- End function
	.section	.AMDGPU.csdata,"",@progbits
; Kernel info:
; codeLenInByte = 12136
; NumSgprs: 41
; NumVgprs: 146
; ScratchSize: 0
; MemoryBound: 1
; FloatMode: 240
; IeeeMode: 1
; LDSByteSize: 0 bytes/workgroup (compile time only)
; SGPRBlocks: 5
; VGPRBlocks: 18
; NumSGPRsForWavesPerEU: 41
; NumVGPRsForWavesPerEU: 146
; Occupancy: 9
; WaveLimiterHint : 1
; COMPUTE_PGM_RSRC2:SCRATCH_EN: 0
; COMPUTE_PGM_RSRC2:USER_SGPR: 2
; COMPUTE_PGM_RSRC2:TRAP_HANDLER: 0
; COMPUTE_PGM_RSRC2:TGID_X_EN: 1
; COMPUTE_PGM_RSRC2:TGID_Y_EN: 0
; COMPUTE_PGM_RSRC2:TGID_Z_EN: 0
; COMPUTE_PGM_RSRC2:TIDIG_COMP_CNT: 0
	.text
	.p2alignl 7, 3214868480
	.fill 96, 4, 3214868480
	.type	__hip_cuid_cf0214597eee2004,@object ; @__hip_cuid_cf0214597eee2004
	.section	.bss,"aw",@nobits
	.globl	__hip_cuid_cf0214597eee2004
__hip_cuid_cf0214597eee2004:
	.byte	0                               ; 0x0
	.size	__hip_cuid_cf0214597eee2004, 1

	.ident	"AMD clang version 19.0.0git (https://github.com/RadeonOpenCompute/llvm-project roc-6.4.0 25133 c7fe45cf4b819c5991fe208aaa96edf142730f1d)"
	.section	".note.GNU-stack","",@progbits
	.addrsig
	.addrsig_sym __hip_cuid_cf0214597eee2004
	.amdgpu_metadata
---
amdhsa.kernels:
  - .args:
      - .actual_access:  read_only
        .address_space:  global
        .offset:         0
        .size:           8
        .value_kind:     global_buffer
      - .offset:         8
        .size:           8
        .value_kind:     by_value
      - .actual_access:  read_only
        .address_space:  global
        .offset:         16
        .size:           8
        .value_kind:     global_buffer
      - .actual_access:  read_only
        .address_space:  global
        .offset:         24
        .size:           8
        .value_kind:     global_buffer
      - .actual_access:  read_only
        .address_space:  global
        .offset:         32
        .size:           8
        .value_kind:     global_buffer
      - .offset:         40
        .size:           8
        .value_kind:     by_value
      - .actual_access:  read_only
        .address_space:  global
        .offset:         48
        .size:           8
        .value_kind:     global_buffer
      - .actual_access:  read_only
        .address_space:  global
        .offset:         56
        .size:           8
        .value_kind:     global_buffer
      - .offset:         64
        .size:           4
        .value_kind:     by_value
      - .actual_access:  read_only
        .address_space:  global
        .offset:         72
        .size:           8
        .value_kind:     global_buffer
      - .actual_access:  read_only
        .address_space:  global
        .offset:         80
        .size:           8
        .value_kind:     global_buffer
      - .actual_access:  read_only
        .address_space:  global
        .offset:         88
        .size:           8
        .value_kind:     global_buffer
      - .actual_access:  write_only
        .address_space:  global
        .offset:         96
        .size:           8
        .value_kind:     global_buffer
    .group_segment_fixed_size: 0
    .kernarg_segment_align: 8
    .kernarg_segment_size: 104
    .language:       OpenCL C
    .language_version:
      - 2
      - 0
    .max_flat_workgroup_size: 250
    .name:           fft_rtc_fwd_len1875_factors_5_5_5_5_3_wgs_250_tpt_125_halfLds_dp_op_CI_CI_unitstride_sbrr_dirReg
    .private_segment_fixed_size: 0
    .sgpr_count:     41
    .sgpr_spill_count: 0
    .symbol:         fft_rtc_fwd_len1875_factors_5_5_5_5_3_wgs_250_tpt_125_halfLds_dp_op_CI_CI_unitstride_sbrr_dirReg.kd
    .uniform_work_group_size: 1
    .uses_dynamic_stack: false
    .vgpr_count:     146
    .vgpr_spill_count: 0
    .wavefront_size: 32
    .workgroup_processor_mode: 1
amdhsa.target:   amdgcn-amd-amdhsa--gfx1201
amdhsa.version:
  - 1
  - 2
...

	.end_amdgpu_metadata
